;; amdgpu-corpus repo=ROCm/rocFFT kind=compiled arch=gfx1201 opt=O3
	.text
	.amdgcn_target "amdgcn-amd-amdhsa--gfx1201"
	.amdhsa_code_object_version 6
	.protected	bluestein_single_fwd_len1375_dim1_dp_op_CI_CI ; -- Begin function bluestein_single_fwd_len1375_dim1_dp_op_CI_CI
	.globl	bluestein_single_fwd_len1375_dim1_dp_op_CI_CI
	.p2align	8
	.type	bluestein_single_fwd_len1375_dim1_dp_op_CI_CI,@function
bluestein_single_fwd_len1375_dim1_dp_op_CI_CI: ; @bluestein_single_fwd_len1375_dim1_dp_op_CI_CI
; %bb.0:
	s_load_b128 s[12:15], s[0:1], 0x28
	v_mul_u32_u24_e32 v1, 0x4a8, v0
	s_mov_b32 s2, exec_lo
	v_mov_b32_e32 v6, 0
	s_delay_alu instid0(VALU_DEP_2) | instskip(NEXT) | instid1(VALU_DEP_1)
	v_lshrrev_b32_e32 v1, 16, v1
	v_add_nc_u32_e32 v5, ttmp9, v1
	s_wait_kmcnt 0x0
	s_delay_alu instid0(VALU_DEP_1)
	v_cmpx_gt_u64_e64 s[12:13], v[5:6]
	s_cbranch_execz .LBB0_15
; %bb.1:
	s_clause 0x1
	s_load_b128 s[4:7], s[0:1], 0x18
	s_load_b64 s[12:13], s[0:1], 0x0
	v_mul_lo_u16 v1, v1, 55
	s_movk_i32 s2, 0xfb55
	s_mov_b32 s3, -1
	v_mov_b32_e32 v6, v5
	s_delay_alu instid0(VALU_DEP_2) | instskip(NEXT) | instid1(VALU_DEP_1)
	v_sub_nc_u16 v2, v0, v1
	v_and_b32_e32 v237, 0xffff, v2
	s_delay_alu instid0(VALU_DEP_1)
	v_lshlrev_b32_e32 v196, 4, v237
	s_wait_kmcnt 0x0
	s_load_b128 s[8:11], s[4:5], 0x0
	s_clause 0x5
	global_load_b128 v[173:176], v196, s[12:13] offset:18000
	global_load_b128 v[169:172], v196, s[12:13] offset:20000
	global_load_b128 v[129:132], v196, s[12:13]
	global_load_b128 v[157:160], v196, s[12:13] offset:880
	global_load_b128 v[125:128], v196, s[12:13] offset:2000
	;; [unrolled: 1-line block ×3, first 2 shown]
	scratch_store_b64 off, v[6:7], off offset:136 ; 8-byte Folded Spill
	s_wait_kmcnt 0x0
	v_mad_co_u64_u32 v[0:1], null, s10, v5, 0
	v_mad_co_u64_u32 v[3:4], null, s8, v237, 0
	s_mul_u64 s[4:5], s[8:9], 0x7d
	s_mul_u64 s[2:3], s[8:9], s[2:3]
	s_delay_alu instid0(SALU_CYCLE_1) | instskip(NEXT) | instid1(VALU_DEP_2)
	s_lshl_b64 s[2:3], s[2:3], 4
	v_mad_co_u64_u32 v[5:6], null, s11, v5, v[1:2]
	s_delay_alu instid0(VALU_DEP_1) | instskip(NEXT) | instid1(VALU_DEP_3)
	v_mov_b32_e32 v1, v5
	v_mad_co_u64_u32 v[6:7], null, s9, v237, v[4:5]
	s_clause 0x5
	global_load_b128 v[133:136], v196, s[12:13] offset:4000
	global_load_b128 v[165:168], v196, s[12:13] offset:4880
	;; [unrolled: 1-line block ×6, first 2 shown]
	v_lshlrev_b64_e32 v[0:1], 4, v[0:1]
	s_clause 0x7
	global_load_b128 v[153:156], v196, s[12:13] offset:10000
	global_load_b128 v[185:188], v196, s[12:13] offset:10880
	;; [unrolled: 1-line block ×8, first 2 shown]
	v_mov_b32_e32 v4, v6
	s_delay_alu instid0(VALU_DEP_1) | instskip(SKIP_3) | instid1(VALU_DEP_2)
	v_lshlrev_b64_e32 v[5:6], 4, v[3:4]
	v_add_co_u32 v3, vcc_lo, s14, v0
	v_add_co_ci_u32_e32 v4, vcc_lo, s15, v1, vcc_lo
	s_lshl_b64 s[14:15], s[4:5], 4
	v_add_co_u32 v0, vcc_lo, v3, v5
	s_wait_alu 0xfffd
	s_delay_alu instid0(VALU_DEP_2) | instskip(SKIP_1) | instid1(VALU_DEP_2)
	v_add_co_ci_u32_e32 v1, vcc_lo, v4, v6, vcc_lo
	s_wait_alu 0xfffe
	v_add_co_u32 v9, vcc_lo, v0, s14
	s_wait_alu 0xfffd
	s_delay_alu instid0(VALU_DEP_2) | instskip(NEXT) | instid1(VALU_DEP_2)
	v_add_co_ci_u32_e32 v10, vcc_lo, s15, v1, vcc_lo
	v_add_co_u32 v13, vcc_lo, v9, s14
	s_wait_alu 0xfffd
	s_delay_alu instid0(VALU_DEP_2)
	v_add_co_ci_u32_e32 v14, vcc_lo, s15, v10, vcc_lo
	s_clause 0x1
	global_load_b128 v[5:8], v[0:1], off
	global_load_b128 v[9:12], v[9:10], off
	v_add_co_u32 v17, vcc_lo, v13, s14
	s_wait_alu 0xfffd
	v_add_co_ci_u32_e32 v18, vcc_lo, s15, v14, vcc_lo
	s_delay_alu instid0(VALU_DEP_2) | instskip(SKIP_1) | instid1(VALU_DEP_2)
	v_add_co_u32 v0, vcc_lo, v17, s14
	s_wait_alu 0xfffd
	v_add_co_ci_u32_e32 v1, vcc_lo, s15, v18, vcc_lo
	s_clause 0x1
	global_load_b128 v[13:16], v[13:14], off
	global_load_b128 v[17:20], v[17:18], off
	v_add_co_u32 v25, vcc_lo, v0, s14
	s_wait_alu 0xfffd
	v_add_co_ci_u32_e32 v26, vcc_lo, s15, v1, vcc_lo
	global_load_b128 v[21:24], v[0:1], off
	v_add_co_u32 v0, vcc_lo, v25, s14
	s_wait_alu 0xfffd
	v_add_co_ci_u32_e32 v1, vcc_lo, s15, v26, vcc_lo
	;; [unrolled: 4-line block ×17, first 2 shown]
	global_load_b128 v[221:224], v196, s[12:13] offset:18880
	global_load_b128 v[85:88], v[85:86], off
	global_load_b128 v[205:208], v196, s[12:13] offset:20880
	global_load_b128 v[89:92], v[0:1], off
	v_cmp_gt_u16_e32 vcc_lo, 15, v2
	v_or_b32_e32 v2, 0x550, v237
	s_wait_loadcnt 0x2b
	scratch_store_b128 off, v[173:176], off offset:212 ; 16-byte Folded Spill
	s_wait_loadcnt 0x2a
	scratch_store_b128 off, v[169:172], off offset:196 ; 16-byte Folded Spill
	;; [unrolled: 2-line block ×13, first 2 shown]
	s_wait_loadcnt 0x19
	s_clause 0x5
	scratch_store_b128 off, v[217:220], off offset:404
	scratch_store_b128 off, v[177:180], off offset:228
	;; [unrolled: 1-line block ×6, first 2 shown]
	s_wait_loadcnt 0x18
	scratch_store_b128 off, v[201:204], off offset:308 ; 16-byte Folded Spill
	s_wait_loadcnt 0x17
	v_mul_f64_e32 v[93:94], v[7:8], v[131:132]
	s_wait_loadcnt 0x16
	v_mul_f64_e32 v[97:98], v[11:12], v[127:128]
	v_mul_f64_e32 v[99:100], v[9:10], v[127:128]
	;; [unrolled: 1-line block ×3, first 2 shown]
	s_wait_loadcnt 0x15
	v_mul_f64_e32 v[101:102], v[15:16], v[135:136]
	s_wait_loadcnt 0x14
	v_mul_f64_e32 v[105:106], v[19:20], v[139:140]
	v_mul_f64_e32 v[107:108], v[17:18], v[139:140]
	;; [unrolled: 1-line block ×3, first 2 shown]
	s_wait_loadcnt 0x13
	v_mul_f64_e32 v[109:110], v[23:24], v[143:144]
	v_mul_f64_e32 v[111:112], v[21:22], v[143:144]
	s_wait_loadcnt 0x12
	v_mul_f64_e32 v[113:114], v[27:28], v[155:156]
	v_mul_f64_e32 v[115:116], v[25:26], v[155:156]
	s_wait_loadcnt 0x11
	v_mul_f64_e32 v[117:118], v[31:32], v[211:212]
	v_mul_f64_e32 v[119:120], v[29:30], v[211:212]
	s_wait_loadcnt 0x10
	v_mul_f64_e32 v[121:122], v[35:36], v[215:216]
	v_mul_f64_e32 v[123:124], v[33:34], v[215:216]
	v_fma_f64 v[5:6], v[5:6], v[129:130], v[93:94]
	v_fma_f64 v[9:10], v[9:10], v[125:126], v[97:98]
	v_fma_f64 v[11:12], v[11:12], v[125:126], -v[99:100]
	s_wait_loadcnt 0xe
	v_mul_f64_e32 v[97:98], v[43:44], v[175:176]
	v_mul_f64_e32 v[99:100], v[41:42], v[175:176]
	v_fma_f64 v[7:8], v[7:8], v[129:130], -v[95:96]
	v_mul_f64_e32 v[93:94], v[39:40], v[219:220]
	v_mul_f64_e32 v[95:96], v[37:38], v[219:220]
	v_fma_f64 v[13:14], v[13:14], v[133:134], v[101:102]
	v_fma_f64 v[17:18], v[17:18], v[137:138], v[105:106]
	v_fma_f64 v[19:20], v[19:20], v[137:138], -v[107:108]
	s_wait_loadcnt 0xc
	v_mul_f64_e32 v[105:106], v[51:52], v[159:160]
	v_mul_f64_e32 v[107:108], v[49:50], v[159:160]
	v_fma_f64 v[15:16], v[15:16], v[133:134], -v[103:104]
	v_mul_f64_e32 v[101:102], v[47:48], v[171:172]
	v_mul_f64_e32 v[103:104], v[45:46], v[171:172]
	v_fma_f64 v[21:22], v[21:22], v[141:142], v[109:110]
	v_fma_f64 v[23:24], v[23:24], v[141:142], -v[111:112]
	s_wait_loadcnt 0xb
	v_mul_f64_e32 v[109:110], v[55:56], v[163:164]
	v_fma_f64 v[25:26], v[25:26], v[153:154], v[113:114]
	v_fma_f64 v[27:28], v[27:28], v[153:154], -v[115:116]
	v_mul_f64_e32 v[111:112], v[53:54], v[163:164]
	s_wait_loadcnt 0xa
	v_mul_f64_e32 v[125:126], v[59:60], v[167:168]
	v_mul_f64_e32 v[127:128], v[57:58], v[167:168]
	v_fma_f64 v[29:30], v[29:30], v[209:210], v[117:118]
	v_fma_f64 v[31:32], v[31:32], v[209:210], -v[119:120]
	s_wait_loadcnt 0x9
	v_mul_f64_e32 v[129:130], v[63:64], v[179:180]
	v_mul_f64_e32 v[131:132], v[61:62], v[179:180]
	v_fma_f64 v[33:34], v[33:34], v[213:214], v[121:122]
	v_fma_f64 v[35:36], v[35:36], v[213:214], -v[123:124]
	s_wait_loadcnt 0x8
	v_mul_f64_e32 v[133:134], v[67:68], v[183:184]
	v_mul_f64_e32 v[135:136], v[65:66], v[183:184]
	s_wait_loadcnt 0x7
	v_mul_f64_e32 v[137:138], v[71:72], v[187:188]
	v_mul_f64_e32 v[139:140], v[69:70], v[187:188]
	v_fma_f64 v[41:42], v[41:42], v[173:174], v[97:98]
	v_fma_f64 v[43:44], v[43:44], v[173:174], -v[99:100]
	s_wait_loadcnt 0x6
	v_mul_f64_e32 v[141:142], v[75:76], v[191:192]
	v_mul_f64_e32 v[143:144], v[73:74], v[191:192]
	v_fma_f64 v[37:38], v[37:38], v[217:218], v[93:94]
	v_fma_f64 v[39:40], v[39:40], v[217:218], -v[95:96]
	v_add_co_u32 v93, s16, s12, v196
	s_wait_loadcnt 0x5
	v_mul_f64_e32 v[145:146], v[79:80], v[199:200]
	v_mul_f64_e32 v[147:148], v[77:78], v[199:200]
	v_fma_f64 v[49:50], v[49:50], v[157:158], v[105:106]
	v_fma_f64 v[51:52], v[51:52], v[157:158], -v[107:108]
	s_wait_loadcnt 0x4
	v_mul_f64_e32 v[149:150], v[83:84], v[203:204]
	v_mul_f64_e32 v[151:152], v[81:82], v[203:204]
	v_fma_f64 v[45:46], v[45:46], v[169:170], v[101:102]
	s_wait_loadcnt 0x2
	v_mul_f64_e32 v[113:114], v[87:88], v[223:224]
	s_wait_loadcnt 0x1
	scratch_store_b128 off, v[205:208], off offset:324 ; 16-byte Folded Spill
	v_mul_f64_e32 v[115:116], v[85:86], v[223:224]
	s_wait_loadcnt 0x0
	v_mul_f64_e32 v[153:154], v[91:92], v[207:208]
	v_mul_f64_e32 v[155:156], v[89:90], v[207:208]
	v_fma_f64 v[47:48], v[47:48], v[169:170], -v[103:104]
	v_fma_f64 v[53:54], v[53:54], v[161:162], v[109:110]
	v_fma_f64 v[55:56], v[55:56], v[161:162], -v[111:112]
	v_fma_f64 v[57:58], v[57:58], v[165:166], v[125:126]
	;; [unrolled: 2-line block ×3, first 2 shown]
	v_fma_f64 v[63:64], v[63:64], v[177:178], -v[131:132]
	scratch_store_b128 off, v[221:224], off offset:436 ; 16-byte Folded Spill
	s_load_b64 s[10:11], s[0:1], 0x38
	s_load_b128 s[4:7], s[6:7], 0x0
	v_add_co_ci_u32_e64 v94, null, s13, 0, s16
	v_fma_f64 v[65:66], v[65:66], v[181:182], v[133:134]
	v_fma_f64 v[67:68], v[67:68], v[181:182], -v[135:136]
	scratch_store_b64 off, v[93:94], off    ; 8-byte Folded Spill
	v_fma_f64 v[69:70], v[69:70], v[185:186], v[137:138]
	v_fma_f64 v[71:72], v[71:72], v[185:186], -v[139:140]
	v_fma_f64 v[73:74], v[73:74], v[189:190], v[141:142]
	v_fma_f64 v[75:76], v[75:76], v[189:190], -v[143:144]
	v_fma_f64 v[77:78], v[77:78], v[197:198], v[145:146]
	v_fma_f64 v[79:80], v[79:80], v[197:198], -v[147:148]
	v_fma_f64 v[81:82], v[81:82], v[201:202], v[149:150]
	v_fma_f64 v[83:84], v[83:84], v[201:202], -v[151:152]
	ds_store_b128 v196, v[5:8]
	ds_store_b128 v196, v[49:52] offset:880
	ds_store_b128 v196, v[9:12] offset:2000
	;; [unrolled: 1-line block ×17, first 2 shown]
	v_fma_f64 v[85:86], v[85:86], v[221:222], v[113:114]
	v_fma_f64 v[87:88], v[87:88], v[221:222], -v[115:116]
	v_fma_f64 v[89:90], v[89:90], v[205:206], v[153:154]
	v_fma_f64 v[91:92], v[91:92], v[205:206], -v[155:156]
	scratch_store_b32 off, v2, off offset:976 ; 4-byte Folded Spill
	ds_store_b128 v196, v[41:44] offset:18000
	ds_store_b128 v196, v[85:88] offset:18880
	;; [unrolled: 1-line block ×4, first 2 shown]
	s_and_saveexec_b32 s16, vcc_lo
	s_cbranch_execz .LBB0_3
; %bb.2:
	v_add_co_u32 v0, s2, v0, s2
	s_wait_alu 0xf1ff
	v_add_co_ci_u32_e64 v1, s2, s3, v1, s2
	v_or_b32_e32 v43, 0x550, v237
	s_delay_alu instid0(VALU_DEP_3) | instskip(SKIP_1) | instid1(VALU_DEP_3)
	v_add_co_u32 v13, s2, v0, s14
	s_wait_alu 0xf1ff
	v_add_co_ci_u32_e64 v14, s2, s15, v1, s2
	s_delay_alu instid0(VALU_DEP_3)
	v_mad_co_u64_u32 v[61:62], null, s8, v43, 0
	global_load_b128 v[5:8], v[0:1], off
	global_load_b128 v[9:12], v[13:14], off
	scratch_load_b64 v[81:82], off, off     ; 8-byte Folded Reload
	v_add_co_u32 v0, s2, v13, s14
	s_wait_alu 0xf1ff
	v_add_co_ci_u32_e64 v1, s2, s15, v14, s2
	s_wait_loadcnt 0x0
	s_clause 0x1
	global_load_b128 v[13:16], v[81:82], off offset:1760
	global_load_b128 v[17:20], v[81:82], off offset:3760
	v_add_co_u32 v25, s2, v0, s14
	s_wait_alu 0xf1ff
	v_add_co_ci_u32_e64 v26, s2, s15, v1, s2
	s_delay_alu instid0(VALU_DEP_2) | instskip(SKIP_1) | instid1(VALU_DEP_2)
	v_add_co_u32 v41, s2, v25, s14
	s_wait_alu 0xf1ff
	v_add_co_ci_u32_e64 v42, s2, s15, v26, s2
	global_load_b128 v[21:24], v[0:1], off
	global_load_b128 v[25:28], v[25:26], off
	s_clause 0x1
	global_load_b128 v[29:32], v[81:82], off offset:5760
	global_load_b128 v[33:36], v[81:82], off offset:7760
	global_load_b128 v[37:40], v[41:42], off
	v_mov_b32_e32 v0, v62
	v_add_co_u32 v1, s2, v41, s14
	s_wait_alu 0xf1ff
	v_add_co_ci_u32_e64 v2, s2, s15, v42, s2
	s_delay_alu instid0(VALU_DEP_2) | instskip(SKIP_2) | instid1(VALU_DEP_3)
	v_mad_co_u64_u32 v[45:46], null, s9, v43, v[0:1]
	v_add_co_u32 v53, s2, v1, s14
	s_wait_alu 0xf1ff
	v_add_co_ci_u32_e64 v54, s2, s15, v2, s2
	global_load_b128 v[41:44], v[1:2], off
	v_add_co_u32 v0, s2, v53, s14
	v_mov_b32_e32 v62, v45
	s_wait_alu 0xf1ff
	v_add_co_ci_u32_e64 v1, s2, s15, v54, s2
	s_delay_alu instid0(VALU_DEP_3) | instskip(NEXT) | instid1(VALU_DEP_3)
	v_add_co_u32 v73, s2, v0, s14
	v_lshlrev_b64_e32 v[61:62], 4, v[61:62]
	s_wait_alu 0xf1ff
	s_delay_alu instid0(VALU_DEP_3)
	v_add_co_ci_u32_e64 v74, s2, s15, v1, s2
	s_clause 0x1
	global_load_b128 v[45:48], v[81:82], off offset:9760
	global_load_b128 v[49:52], v[81:82], off offset:11760
	global_load_b128 v[53:56], v[53:54], off
	global_load_b128 v[57:60], v[0:1], off
	v_add_co_u32 v61, s2, v3, v61
	s_wait_alu 0xf1ff
	v_add_co_ci_u32_e64 v62, s2, v4, v62, s2
	v_add_co_u32 v85, s2, v73, s14
	s_wait_alu 0xf1ff
	v_add_co_ci_u32_e64 v86, s2, s15, v74, s2
	global_load_b128 v[0:3], v[81:82], off offset:13760
	global_load_b128 v[61:64], v[61:62], off
	s_clause 0x1
	global_load_b128 v[65:68], v[81:82], off offset:21760
	global_load_b128 v[69:72], v[81:82], off offset:15760
	global_load_b128 v[73:76], v[73:74], off
	s_clause 0x1
	global_load_b128 v[77:80], v[81:82], off offset:17760
	global_load_b128 v[81:84], v[81:82], off offset:19760
	global_load_b128 v[85:88], v[85:86], off
	s_wait_loadcnt 0x13
	v_mul_f64_e32 v[89:90], v[7:8], v[15:16]
	v_mul_f64_e32 v[15:16], v[5:6], v[15:16]
	s_wait_loadcnt 0x12
	v_mul_f64_e32 v[91:92], v[11:12], v[19:20]
	v_mul_f64_e32 v[19:20], v[9:10], v[19:20]
	;; [unrolled: 3-line block ×7, first 2 shown]
	s_wait_loadcnt 0x5
	v_mul_f64_e32 v[105:106], v[63:64], v[67:68]
	s_wait_loadcnt 0x4
	v_mul_f64_e32 v[107:108], v[59:60], v[71:72]
	v_mul_f64_e32 v[71:72], v[57:58], v[71:72]
	s_wait_loadcnt 0x2
	v_mul_f64_e32 v[109:110], v[75:76], v[79:80]
	v_mul_f64_e32 v[79:80], v[73:74], v[79:80]
	s_wait_loadcnt 0x0
	v_mul_f64_e32 v[111:112], v[87:88], v[83:84]
	v_mul_f64_e32 v[83:84], v[85:86], v[83:84]
	v_mul_f64_e32 v[67:68], v[61:62], v[67:68]
	v_fma_f64 v[2:3], v[5:6], v[13:14], v[89:90]
	v_fma_f64 v[4:5], v[7:8], v[13:14], -v[15:16]
	v_fma_f64 v[6:7], v[9:10], v[17:18], v[91:92]
	v_fma_f64 v[8:9], v[11:12], v[17:18], -v[19:20]
	;; [unrolled: 2-line block ×7, first 2 shown]
	v_fma_f64 v[30:31], v[61:62], v[65:66], v[105:106]
	v_fma_f64 v[34:35], v[57:58], v[69:70], v[107:108]
	v_fma_f64 v[36:37], v[59:60], v[69:70], -v[71:72]
	v_fma_f64 v[38:39], v[73:74], v[77:78], v[109:110]
	v_fma_f64 v[40:41], v[75:76], v[77:78], -v[79:80]
	;; [unrolled: 2-line block ×3, first 2 shown]
	v_fma_f64 v[32:33], v[63:64], v[65:66], -v[67:68]
	ds_store_b128 v196, v[2:5] offset:1760
	ds_store_b128 v196, v[6:9] offset:3760
	;; [unrolled: 1-line block ×11, first 2 shown]
.LBB0_3:
	s_wait_alu 0xfffe
	s_or_b32 exec_lo, exec_lo, s16
	global_wb scope:SCOPE_SE
	s_wait_storecnt_dscnt 0x0
	s_wait_kmcnt 0x0
	s_barrier_signal -1
	s_barrier_wait -1
	global_inv scope:SCOPE_SE
	ds_load_b128 v[52:55], v196
	ds_load_b128 v[44:47], v196 offset:880
	ds_load_b128 v[96:99], v196 offset:2000
	;; [unrolled: 1-line block ×21, first 2 shown]
	s_load_b64 s[0:1], s[0:1], 0x8
                                        ; implicit-def: $vgpr0_vgpr1
                                        ; implicit-def: $vgpr4_vgpr5
                                        ; implicit-def: $vgpr8_vgpr9
                                        ; implicit-def: $vgpr12_vgpr13
                                        ; implicit-def: $vgpr16_vgpr17
                                        ; implicit-def: $vgpr32_vgpr33
                                        ; implicit-def: $vgpr28_vgpr29
                                        ; implicit-def: $vgpr24_vgpr25
                                        ; implicit-def: $vgpr20_vgpr21
                                        ; implicit-def: $vgpr36_vgpr37
                                        ; implicit-def: $vgpr40_vgpr41
	s_and_saveexec_b32 s2, vcc_lo
	s_cbranch_execz .LBB0_5
; %bb.4:
	ds_load_b128 v[0:3], v196 offset:1760
	ds_load_b128 v[4:7], v196 offset:3760
	;; [unrolled: 1-line block ×11, first 2 shown]
.LBB0_5:
	s_wait_alu 0xfffe
	s_or_b32 exec_lo, exec_lo, s2
	s_wait_dscnt 0x13
	v_add_f64_e32 v[132:133], v[52:53], v[96:97]
	v_add_f64_e32 v[134:135], v[54:55], v[98:99]
	s_wait_dscnt 0x1
	v_add_f64_e32 v[168:169], v[96:97], v[48:49]
	v_add_f64_e32 v[170:171], v[98:99], v[50:51]
	v_add_f64_e64 v[96:97], v[96:97], -v[48:49]
	v_add_f64_e64 v[98:99], v[98:99], -v[50:51]
	v_add_f64_e32 v[140:141], v[88:89], v[92:93]
	v_add_f64_e32 v[142:143], v[90:91], v[94:95]
	v_add_f64_e64 v[154:155], v[78:79], -v[86:87]
	v_add_f64_e64 v[152:153], v[76:77], -v[84:85]
	;; [unrolled: 4-line block ×4, first 2 shown]
	v_add_f64_e32 v[156:157], v[60:61], v[72:73]
	v_add_f64_e32 v[158:159], v[62:63], v[74:75]
	s_mov_b32 s26, 0xf8bb580b
	s_mov_b32 s34, 0x8eee2c13
	;; [unrolled: 1-line block ×10, first 2 shown]
	s_wait_dscnt 0x0
	v_add_f64_e64 v[172:173], v[56:57], -v[68:69]
	v_add_f64_e64 v[174:175], v[58:59], -v[70:71]
	s_mov_b32 s2, 0x8764f0ba
	s_mov_b32 s18, 0xd9c712b6
	;; [unrolled: 1-line block ×6, first 2 shown]
	v_add_f64_e32 v[132:133], v[132:133], v[104:105]
	v_add_f64_e32 v[134:135], v[134:135], v[106:107]
	s_mov_b32 s19, 0x3fda9628
	s_mov_b32 s15, 0xbfc2375f
	;; [unrolled: 1-line block ×12, first 2 shown]
	v_add_f64_e64 v[192:193], v[6:7], -v[42:43]
	v_add_f64_e64 v[194:195], v[10:11], -v[38:39]
	;; [unrolled: 1-line block ×10, first 2 shown]
	v_add_f64_e32 v[132:133], v[132:133], v[112:113]
	v_add_f64_e32 v[134:135], v[134:135], v[114:115]
	v_mul_f64_e32 v[186:187], s[34:35], v[192:193]
	v_mul_f64_e32 v[190:191], s[34:35], v[197:198]
	;; [unrolled: 1-line block ×4, first 2 shown]
	v_add_f64_e32 v[132:133], v[132:133], v[120:121]
	v_add_f64_e32 v[134:135], v[134:135], v[122:123]
	s_delay_alu instid0(VALU_DEP_2) | instskip(NEXT) | instid1(VALU_DEP_2)
	v_add_f64_e32 v[136:137], v[132:133], v[128:129]
	v_add_f64_e32 v[138:139], v[134:135], v[130:131]
	v_add_f64_e32 v[132:133], v[128:129], v[124:125]
	v_add_f64_e32 v[134:135], v[130:131], v[126:127]
	v_add_f64_e64 v[128:129], v[128:129], -v[124:125]
	v_add_f64_e64 v[130:131], v[130:131], -v[126:127]
	v_add_f64_e32 v[136:137], v[136:137], v[124:125]
	v_add_f64_e32 v[138:139], v[138:139], v[126:127]
	v_add_f64_e32 v[124:125], v[120:121], v[116:117]
	v_add_f64_e32 v[126:127], v[122:123], v[118:119]
	v_add_f64_e64 v[120:121], v[120:121], -v[116:117]
	v_add_f64_e64 v[122:123], v[122:123], -v[118:119]
	;; [unrolled: 6-line block ×4, first 2 shown]
	v_add_f64_e32 v[100:101], v[136:137], v[100:101]
	v_add_f64_e32 v[102:103], v[138:139], v[102:103]
	v_add_f64_e64 v[138:139], v[90:91], -v[94:95]
	v_add_f64_e64 v[136:137], v[88:89], -v[92:93]
	s_delay_alu instid0(VALU_DEP_4) | instskip(NEXT) | instid1(VALU_DEP_4)
	v_add_f64_e32 v[48:49], v[100:101], v[48:49]
	v_add_f64_e32 v[50:51], v[102:103], v[50:51]
	;; [unrolled: 1-line block ×4, first 2 shown]
	s_delay_alu instid0(VALU_DEP_2) | instskip(NEXT) | instid1(VALU_DEP_2)
	v_add_f64_e32 v[100:101], v[100:101], v[60:61]
	v_add_f64_e32 v[102:103], v[102:103], v[62:63]
	s_delay_alu instid0(VALU_DEP_2) | instskip(NEXT) | instid1(VALU_DEP_2)
	v_add_f64_e32 v[100:101], v[100:101], v[64:65]
	v_add_f64_e32 v[102:103], v[102:103], v[66:67]
	;; [unrolled: 3-line block ×5, first 2 shown]
	v_add_f64_e32 v[100:101], v[56:57], v[68:69]
	v_add_f64_e32 v[102:103], v[58:59], v[70:71]
	s_delay_alu instid0(VALU_DEP_4) | instskip(NEXT) | instid1(VALU_DEP_4)
	v_add_f64_e32 v[76:77], v[88:89], v[84:85]
	v_add_f64_e32 v[78:79], v[90:91], v[86:87]
	v_mul_f64_e32 v[84:85], s[20:21], v[96:97]
	v_mul_f64_e32 v[86:87], s[22:23], v[96:97]
	;; [unrolled: 1-line block ×3, first 2 shown]
	v_add_f64_e32 v[64:65], v[76:77], v[80:81]
	v_add_f64_e32 v[66:67], v[78:79], v[82:83]
	v_mul_f64_e32 v[80:81], s[26:27], v[96:97]
	v_mul_f64_e32 v[82:83], s[34:35], v[96:97]
	s_wait_alu 0xfffe
	v_fma_f64 v[94:95], v[170:171], s[14:15], v[84:85]
	v_fma_f64 v[84:85], v[170:171], s[14:15], -v[84:85]
	v_fma_f64 v[96:97], v[170:171], s[16:17], v[86:87]
	v_fma_f64 v[86:87], v[170:171], s[16:17], -v[86:87]
	v_add_f64_e32 v[60:61], v[64:65], v[72:73]
	v_add_f64_e32 v[62:63], v[66:67], v[74:75]
	v_mul_f64_e32 v[64:65], s[20:21], v[98:99]
	v_mul_f64_e32 v[66:67], s[22:23], v[98:99]
	v_fma_f64 v[90:91], v[170:171], s[2:3], v[80:81]
	v_fma_f64 v[80:81], v[170:171], s[2:3], -v[80:81]
	v_fma_f64 v[92:93], v[170:171], s[18:19], v[82:83]
	v_fma_f64 v[82:83], v[170:171], s[18:19], -v[82:83]
	v_add_f64_e32 v[94:95], v[54:55], v[94:95]
	v_add_f64_e32 v[84:85], v[54:55], v[84:85]
	;; [unrolled: 1-line block ×6, first 2 shown]
	v_mul_f64_e32 v[60:61], s[26:27], v[98:99]
	v_mul_f64_e32 v[62:63], s[34:35], v[98:99]
	;; [unrolled: 1-line block ×3, first 2 shown]
	v_fma_f64 v[74:75], v[168:169], s[14:15], -v[64:65]
	v_fma_f64 v[64:65], v[168:169], s[14:15], v[64:65]
	v_fma_f64 v[76:77], v[168:169], s[16:17], -v[66:67]
	v_fma_f64 v[66:67], v[168:169], s[16:17], v[66:67]
	v_fma_f64 v[98:99], v[170:171], s[8:9], v[88:89]
	v_fma_f64 v[88:89], v[170:171], s[8:9], -v[88:89]
	v_add_f64_e32 v[90:91], v[54:55], v[90:91]
	v_add_f64_e32 v[80:81], v[54:55], v[80:81]
	;; [unrolled: 1-line block ×4, first 2 shown]
	v_fma_f64 v[70:71], v[168:169], s[2:3], -v[60:61]
	v_fma_f64 v[60:61], v[168:169], s[2:3], v[60:61]
	v_fma_f64 v[72:73], v[168:169], s[18:19], -v[62:63]
	v_fma_f64 v[62:63], v[168:169], s[18:19], v[62:63]
	;; [unrolled: 2-line block ×3, first 2 shown]
	v_add_f64_e32 v[74:75], v[52:53], v[74:75]
	v_add_f64_e32 v[170:171], v[52:53], v[64:65]
	;; [unrolled: 1-line block ×6, first 2 shown]
	v_mul_f64_e32 v[76:77], s[22:23], v[122:123]
	v_mul_f64_e32 v[88:89], s[24:25], v[130:131]
	v_add_f64_e32 v[70:71], v[52:53], v[70:71]
	v_add_f64_e32 v[60:61], v[52:53], v[60:61]
	;; [unrolled: 1-line block ×6, first 2 shown]
	v_mul_f64_e32 v[52:53], s[34:35], v[106:107]
	v_mul_f64_e32 v[62:63], s[34:35], v[104:105]
	;; [unrolled: 1-line block ×4, first 2 shown]
	s_delay_alu instid0(VALU_DEP_4) | instskip(NEXT) | instid1(VALU_DEP_4)
	v_fma_f64 v[54:55], v[108:109], s[18:19], -v[52:53]
	v_fma_f64 v[64:65], v[110:111], s[18:19], v[62:63]
	s_delay_alu instid0(VALU_DEP_4) | instskip(SKIP_1) | instid1(VALU_DEP_4)
	v_fma_f64 v[66:67], v[116:117], s[14:15], -v[68:69]
	v_fma_f64 v[52:53], v[108:109], s[18:19], v[52:53]
	v_add_f64_e32 v[54:55], v[54:55], v[70:71]
	v_mul_f64_e32 v[70:71], s[20:21], v[112:113]
	v_add_f64_e32 v[64:65], v[64:65], v[90:91]
	s_delay_alu instid0(VALU_DEP_4)
	v_add_f64_e32 v[52:53], v[52:53], v[60:61]
	v_fma_f64 v[60:61], v[110:111], s[18:19], -v[62:63]
	v_fma_f64 v[62:63], v[116:117], s[14:15], v[68:69]
	v_mul_f64_e32 v[68:69], s[22:23], v[106:107]
	v_add_f64_e32 v[54:55], v[66:67], v[54:55]
	v_fma_f64 v[66:67], v[118:119], s[14:15], v[70:71]
	v_add_f64_e32 v[60:61], v[60:61], v[80:81]
	v_add_f64_e32 v[52:53], v[62:63], v[52:53]
	v_fma_f64 v[62:63], v[118:119], s[14:15], -v[70:71]
	v_mul_f64_e32 v[70:71], s[22:23], v[104:105]
	v_add_f64_e32 v[64:65], v[66:67], v[64:65]
	v_fma_f64 v[66:67], v[124:125], s[16:17], -v[76:77]
	s_delay_alu instid0(VALU_DEP_4) | instskip(SKIP_1) | instid1(VALU_DEP_3)
	v_add_f64_e32 v[60:61], v[62:63], v[60:61]
	v_fma_f64 v[62:63], v[124:125], s[16:17], v[76:77]
	v_add_f64_e32 v[54:55], v[66:67], v[54:55]
	v_fma_f64 v[66:67], v[126:127], s[16:17], v[78:79]
	s_delay_alu instid0(VALU_DEP_3) | instskip(SKIP_1) | instid1(VALU_DEP_3)
	v_add_f64_e32 v[52:53], v[62:63], v[52:53]
	v_fma_f64 v[62:63], v[126:127], s[16:17], -v[78:79]
	v_add_f64_e32 v[66:67], v[66:67], v[64:65]
	v_fma_f64 v[64:65], v[132:133], s[8:9], -v[88:89]
	s_delay_alu instid0(VALU_DEP_3) | instskip(SKIP_1) | instid1(VALU_DEP_3)
	v_add_f64_e32 v[60:61], v[62:63], v[60:61]
	v_fma_f64 v[62:63], v[132:133], s[8:9], v[88:89]
	v_add_f64_e32 v[64:65], v[64:65], v[54:55]
	v_mul_f64_e32 v[54:55], s[24:25], v[128:129]
	s_delay_alu instid0(VALU_DEP_3) | instskip(SKIP_2) | instid1(VALU_DEP_4)
	v_add_f64_e32 v[52:53], v[62:63], v[52:53]
	v_fma_f64 v[62:63], v[110:111], s[16:17], v[70:71]
	v_fma_f64 v[70:71], v[110:111], s[16:17], -v[70:71]
	v_fma_f64 v[90:91], v[134:135], s[8:9], v[54:55]
	v_fma_f64 v[54:55], v[134:135], s[8:9], -v[54:55]
	s_delay_alu instid0(VALU_DEP_4) | instskip(NEXT) | instid1(VALU_DEP_4)
	v_add_f64_e32 v[62:63], v[62:63], v[92:93]
	v_add_f64_e32 v[70:71], v[70:71], v[82:83]
	s_delay_alu instid0(VALU_DEP_4) | instskip(NEXT) | instid1(VALU_DEP_4)
	v_add_f64_e32 v[66:67], v[90:91], v[66:67]
	v_add_f64_e32 v[54:55], v[54:55], v[60:61]
	v_fma_f64 v[60:61], v[108:109], s[16:17], -v[68:69]
	v_fma_f64 v[68:69], v[108:109], s[16:17], v[68:69]
	s_delay_alu instid0(VALU_DEP_2) | instskip(SKIP_1) | instid1(VALU_DEP_3)
	v_add_f64_e32 v[60:61], v[60:61], v[72:73]
	v_mul_f64_e32 v[72:73], s[38:39], v[114:115]
	v_add_f64_e32 v[68:69], v[68:69], v[168:169]
	s_delay_alu instid0(VALU_DEP_2) | instskip(SKIP_1) | instid1(VALU_DEP_2)
	v_fma_f64 v[76:77], v[116:117], s[8:9], -v[72:73]
	v_fma_f64 v[72:73], v[116:117], s[8:9], v[72:73]
	v_add_f64_e32 v[60:61], v[76:77], v[60:61]
	v_mul_f64_e32 v[76:77], s[38:39], v[112:113]
	s_delay_alu instid0(VALU_DEP_3) | instskip(NEXT) | instid1(VALU_DEP_2)
	v_add_f64_e32 v[68:69], v[72:73], v[68:69]
	v_fma_f64 v[78:79], v[118:119], s[8:9], v[76:77]
	v_fma_f64 v[72:73], v[118:119], s[8:9], -v[76:77]
	s_delay_alu instid0(VALU_DEP_2) | instskip(SKIP_1) | instid1(VALU_DEP_3)
	v_add_f64_e32 v[62:63], v[78:79], v[62:63]
	v_mul_f64_e32 v[78:79], s[36:37], v[122:123]
	v_add_f64_e32 v[70:71], v[72:73], v[70:71]
	s_delay_alu instid0(VALU_DEP_2) | instskip(SKIP_2) | instid1(VALU_DEP_3)
	v_fma_f64 v[80:81], v[124:125], s[14:15], -v[78:79]
	v_fma_f64 v[72:73], v[124:125], s[14:15], v[78:79]
	v_mul_f64_e32 v[78:79], s[38:39], v[104:105]
	v_add_f64_e32 v[60:61], v[80:81], v[60:61]
	v_mul_f64_e32 v[80:81], s[36:37], v[120:121]
	s_delay_alu instid0(VALU_DEP_4) | instskip(NEXT) | instid1(VALU_DEP_2)
	v_add_f64_e32 v[68:69], v[72:73], v[68:69]
	v_fma_f64 v[88:89], v[126:127], s[14:15], v[80:81]
	v_fma_f64 v[72:73], v[126:127], s[14:15], -v[80:81]
	v_mul_f64_e32 v[80:81], s[30:31], v[114:115]
	s_delay_alu instid0(VALU_DEP_3) | instskip(SKIP_1) | instid1(VALU_DEP_4)
	v_add_f64_e32 v[62:63], v[88:89], v[62:63]
	v_mul_f64_e32 v[88:89], s[28:29], v[130:131]
	v_add_f64_e32 v[70:71], v[72:73], v[70:71]
	s_delay_alu instid0(VALU_DEP_4) | instskip(SKIP_1) | instid1(VALU_DEP_4)
	v_fma_f64 v[82:83], v[116:117], s[18:19], -v[80:81]
	v_fma_f64 v[80:81], v[116:117], s[18:19], v[80:81]
	v_fma_f64 v[90:91], v[132:133], s[2:3], -v[88:89]
	v_fma_f64 v[72:73], v[132:133], s[2:3], v[88:89]
	s_delay_alu instid0(VALU_DEP_2) | instskip(SKIP_1) | instid1(VALU_DEP_3)
	v_add_f64_e32 v[60:61], v[90:91], v[60:61]
	v_mul_f64_e32 v[90:91], s[28:29], v[128:129]
	v_add_f64_e32 v[68:69], v[72:73], v[68:69]
	s_delay_alu instid0(VALU_DEP_2) | instskip(SKIP_1) | instid1(VALU_DEP_2)
	v_fma_f64 v[76:77], v[134:135], s[2:3], -v[90:91]
	v_fma_f64 v[92:93], v[134:135], s[2:3], v[90:91]
	v_add_f64_e32 v[70:71], v[76:77], v[70:71]
	v_mul_f64_e32 v[76:77], s[38:39], v[106:107]
	s_delay_alu instid0(VALU_DEP_3) | instskip(NEXT) | instid1(VALU_DEP_2)
	v_add_f64_e32 v[62:63], v[92:93], v[62:63]
	v_fma_f64 v[72:73], v[108:109], s[8:9], -v[76:77]
	v_fma_f64 v[76:77], v[108:109], s[8:9], v[76:77]
	s_delay_alu instid0(VALU_DEP_2) | instskip(SKIP_1) | instid1(VALU_DEP_3)
	v_add_f64_e32 v[72:73], v[72:73], v[74:75]
	v_fma_f64 v[74:75], v[110:111], s[8:9], v[78:79]
	v_add_f64_e32 v[76:77], v[76:77], v[170:171]
	v_fma_f64 v[78:79], v[110:111], s[8:9], -v[78:79]
	s_delay_alu instid0(VALU_DEP_4) | instskip(SKIP_2) | instid1(VALU_DEP_4)
	v_add_f64_e32 v[72:73], v[82:83], v[72:73]
	v_mul_f64_e32 v[82:83], s[30:31], v[112:113]
	v_add_f64_e32 v[74:75], v[74:75], v[94:95]
	v_add_f64_e32 v[78:79], v[78:79], v[84:85]
	;; [unrolled: 1-line block ×3, first 2 shown]
	v_mul_f64_e32 v[84:85], s[36:37], v[106:107]
	v_fma_f64 v[88:89], v[118:119], s[18:19], v[82:83]
	v_fma_f64 v[80:81], v[118:119], s[18:19], -v[82:83]
	s_delay_alu instid0(VALU_DEP_2) | instskip(SKIP_1) | instid1(VALU_DEP_3)
	v_add_f64_e32 v[74:75], v[88:89], v[74:75]
	v_mul_f64_e32 v[88:89], s[26:27], v[122:123]
	v_add_f64_e32 v[78:79], v[80:81], v[78:79]
	s_delay_alu instid0(VALU_DEP_2) | instskip(SKIP_2) | instid1(VALU_DEP_3)
	v_fma_f64 v[90:91], v[124:125], s[2:3], -v[88:89]
	v_fma_f64 v[80:81], v[124:125], s[2:3], v[88:89]
	v_mul_f64_e32 v[88:89], s[36:37], v[104:105]
	v_add_f64_e32 v[72:73], v[90:91], v[72:73]
	v_mul_f64_e32 v[90:91], s[26:27], v[120:121]
	s_delay_alu instid0(VALU_DEP_4) | instskip(NEXT) | instid1(VALU_DEP_2)
	v_add_f64_e32 v[76:77], v[80:81], v[76:77]
	v_fma_f64 v[92:93], v[126:127], s[2:3], v[90:91]
	v_fma_f64 v[80:81], v[126:127], s[2:3], -v[90:91]
	v_mul_f64_e32 v[90:91], s[26:27], v[114:115]
	s_delay_alu instid0(VALU_DEP_3) | instskip(SKIP_1) | instid1(VALU_DEP_4)
	v_add_f64_e32 v[74:75], v[92:93], v[74:75]
	v_mul_f64_e32 v[92:93], s[22:23], v[130:131]
	v_add_f64_e32 v[78:79], v[80:81], v[78:79]
	s_delay_alu instid0(VALU_DEP_2) | instskip(SKIP_2) | instid1(VALU_DEP_3)
	v_fma_f64 v[94:95], v[132:133], s[16:17], -v[92:93]
	v_fma_f64 v[80:81], v[132:133], s[16:17], v[92:93]
	v_fma_f64 v[92:93], v[116:117], s[2:3], -v[90:91]
	v_add_f64_e32 v[72:73], v[94:95], v[72:73]
	v_mul_f64_e32 v[94:95], s[22:23], v[128:129]
	s_delay_alu instid0(VALU_DEP_4) | instskip(SKIP_2) | instid1(VALU_DEP_4)
	v_add_f64_e32 v[76:77], v[80:81], v[76:77]
	v_fma_f64 v[80:81], v[108:109], s[14:15], -v[84:85]
	v_fma_f64 v[84:85], v[108:109], s[14:15], v[84:85]
	v_fma_f64 v[82:83], v[134:135], s[16:17], -v[94:95]
	v_fma_f64 v[168:169], v[134:135], s[16:17], v[94:95]
	s_delay_alu instid0(VALU_DEP_4) | instskip(NEXT) | instid1(VALU_DEP_4)
	v_add_f64_e32 v[80:81], v[80:81], v[176:177]
	v_add_f64_e32 v[84:85], v[84:85], v[178:179]
	s_delay_alu instid0(VALU_DEP_4) | instskip(SKIP_1) | instid1(VALU_DEP_4)
	v_add_f64_e32 v[78:79], v[82:83], v[78:79]
	v_fma_f64 v[82:83], v[110:111], s[14:15], v[88:89]
	v_add_f64_e32 v[80:81], v[92:93], v[80:81]
	v_mul_f64_e32 v[92:93], s[26:27], v[112:113]
	v_fma_f64 v[88:89], v[110:111], s[14:15], -v[88:89]
	v_add_f64_e32 v[74:75], v[168:169], v[74:75]
	v_add_f64_e32 v[82:83], v[82:83], v[96:97]
	s_delay_alu instid0(VALU_DEP_4) | instskip(NEXT) | instid1(VALU_DEP_4)
	v_fma_f64 v[94:95], v[118:119], s[2:3], v[92:93]
	v_add_f64_e32 v[86:87], v[88:89], v[86:87]
	v_fma_f64 v[88:89], v[116:117], s[2:3], v[90:91]
	s_delay_alu instid0(VALU_DEP_3) | instskip(SKIP_1) | instid1(VALU_DEP_3)
	v_add_f64_e32 v[82:83], v[94:95], v[82:83]
	v_mul_f64_e32 v[94:95], s[24:25], v[122:123]
	v_add_f64_e32 v[84:85], v[88:89], v[84:85]
	v_fma_f64 v[88:89], v[118:119], s[2:3], -v[92:93]
	v_mul_f64_e32 v[92:93], s[28:29], v[106:107]
	s_delay_alu instid0(VALU_DEP_4) | instskip(NEXT) | instid1(VALU_DEP_3)
	v_fma_f64 v[96:97], v[124:125], s[8:9], -v[94:95]
	v_add_f64_e32 v[86:87], v[88:89], v[86:87]
	v_fma_f64 v[88:89], v[124:125], s[8:9], v[94:95]
	v_mul_f64_e32 v[94:95], s[28:29], v[104:105]
	s_delay_alu instid0(VALU_DEP_4) | instskip(SKIP_1) | instid1(VALU_DEP_4)
	v_add_f64_e32 v[80:81], v[96:97], v[80:81]
	v_mul_f64_e32 v[96:97], s[24:25], v[120:121]
	v_add_f64_e32 v[84:85], v[88:89], v[84:85]
	s_delay_alu instid0(VALU_DEP_2) | instskip(SKIP_3) | instid1(VALU_DEP_4)
	v_fma_f64 v[168:169], v[126:127], s[8:9], v[96:97]
	v_fma_f64 v[88:89], v[126:127], s[8:9], -v[96:97]
	v_mul_f64_e32 v[96:97], s[22:23], v[114:115]
	v_mul_f64_e32 v[114:115], s[20:21], v[128:129]
	v_add_f64_e32 v[82:83], v[168:169], v[82:83]
	v_mul_f64_e32 v[168:169], s[30:31], v[130:131]
	v_add_f64_e32 v[86:87], v[88:89], v[86:87]
	s_delay_alu instid0(VALU_DEP_2) | instskip(SKIP_1) | instid1(VALU_DEP_2)
	v_fma_f64 v[170:171], v[132:133], s[18:19], -v[168:169]
	v_fma_f64 v[88:89], v[132:133], s[18:19], v[168:169]
	v_add_f64_e32 v[80:81], v[170:171], v[80:81]
	v_mul_f64_e32 v[170:171], s[30:31], v[128:129]
	s_delay_alu instid0(VALU_DEP_3)
	v_add_f64_e32 v[84:85], v[88:89], v[84:85]
	v_fma_f64 v[88:89], v[108:109], s[2:3], -v[92:93]
	v_fma_f64 v[92:93], v[108:109], s[2:3], v[92:93]
	v_mul_f64_e32 v[108:109], s[24:25], v[174:175]
	v_fma_f64 v[90:91], v[134:135], s[18:19], -v[170:171]
	v_fma_f64 v[176:177], v[134:135], s[18:19], v[170:171]
	v_add_f64_e32 v[88:89], v[88:89], v[180:181]
	v_add_f64_e32 v[92:93], v[92:93], v[182:183]
	v_mul_f64_e32 v[182:183], s[38:39], v[203:204]
	v_add_f64_e32 v[86:87], v[90:91], v[86:87]
	v_fma_f64 v[90:91], v[110:111], s[2:3], v[94:95]
	v_fma_f64 v[94:95], v[110:111], s[2:3], -v[94:95]
	v_add_f64_e32 v[82:83], v[176:177], v[82:83]
	s_delay_alu instid0(VALU_DEP_3) | instskip(SKIP_4) | instid1(VALU_DEP_4)
	v_add_f64_e32 v[90:91], v[90:91], v[98:99]
	v_fma_f64 v[98:99], v[116:117], s[16:17], -v[96:97]
	v_fma_f64 v[96:97], v[116:117], s[16:17], v[96:97]
	v_add_f64_e32 v[94:95], v[94:95], v[184:185]
	v_mul_f64_e32 v[184:185], s[22:23], v[194:195]
	v_add_f64_e32 v[88:89], v[98:99], v[88:89]
	v_mul_f64_e32 v[98:99], s[22:23], v[112:113]
	v_add_f64_e32 v[92:93], v[96:97], v[92:93]
	s_delay_alu instid0(VALU_DEP_2) | instskip(SKIP_2) | instid1(VALU_DEP_3)
	v_fma_f64 v[104:105], v[118:119], s[16:17], v[98:99]
	v_fma_f64 v[98:99], v[118:119], s[16:17], -v[98:99]
	v_fma_f64 v[118:119], v[100:101], s[8:9], -v[108:109]
	v_add_f64_e32 v[90:91], v[104:105], v[90:91]
	v_mul_f64_e32 v[104:105], s[30:31], v[122:123]
	s_delay_alu instid0(VALU_DEP_4)
	v_add_f64_e32 v[94:95], v[98:99], v[94:95]
	v_fma_f64 v[98:99], v[134:135], s[14:15], -v[114:115]
	v_mul_f64_e32 v[122:123], s[20:21], v[172:173]
	v_add_f64_e32 v[176:177], v[44:45], v[118:119]
	v_mul_f64_e32 v[118:119], s[24:25], v[138:139]
	v_fma_f64 v[106:107], v[124:125], s[18:19], -v[104:105]
	v_fma_f64 v[104:105], v[124:125], s[18:19], v[104:105]
	v_mul_f64_e32 v[124:125], s[22:23], v[172:173]
	s_delay_alu instid0(VALU_DEP_3) | instskip(SKIP_1) | instid1(VALU_DEP_4)
	v_add_f64_e32 v[88:89], v[106:107], v[88:89]
	v_mul_f64_e32 v[106:107], s[30:31], v[120:121]
	v_add_f64_e32 v[92:93], v[104:105], v[92:93]
	v_mul_f64_e32 v[104:105], s[20:21], v[174:175]
	s_delay_alu instid0(VALU_DEP_3) | instskip(SKIP_2) | instid1(VALU_DEP_3)
	v_fma_f64 v[112:113], v[126:127], s[18:19], v[106:107]
	v_fma_f64 v[106:107], v[126:127], s[18:19], -v[106:107]
	v_mul_f64_e32 v[126:127], s[24:25], v[172:173]
	v_add_f64_e32 v[90:91], v[112:113], v[90:91]
	v_mul_f64_e32 v[112:113], s[20:21], v[130:131]
	s_delay_alu instid0(VALU_DEP_4) | instskip(SKIP_2) | instid1(VALU_DEP_4)
	v_add_f64_e32 v[94:95], v[106:107], v[94:95]
	v_mul_f64_e32 v[106:107], s[22:23], v[174:175]
	v_fma_f64 v[168:169], v[102:103], s[8:9], v[126:127]
	v_fma_f64 v[96:97], v[132:133], s[14:15], v[112:113]
	v_fma_f64 v[120:121], v[132:133], s[14:15], -v[112:113]
	v_add_f64_e32 v[94:95], v[98:99], v[94:95]
	v_mul_f64_e32 v[98:99], s[34:35], v[174:175]
	v_fma_f64 v[116:117], v[100:101], s[16:17], -v[106:107]
	v_fma_f64 v[106:107], v[100:101], s[16:17], v[106:107]
	v_fma_f64 v[132:133], v[102:103], s[14:15], v[122:123]
	v_fma_f64 v[122:123], v[102:103], s[14:15], -v[122:123]
	v_add_f64_e32 v[168:169], v[46:47], v[168:169]
	v_add_f64_e32 v[92:93], v[96:97], v[92:93]
	v_mul_f64_e32 v[96:97], s[26:27], v[174:175]
	v_add_f64_e32 v[88:89], v[120:121], v[88:89]
	v_fma_f64 v[120:121], v[134:135], s[14:15], v[114:115]
	v_fma_f64 v[112:113], v[100:101], s[18:19], -v[98:99]
	v_fma_f64 v[98:99], v[100:101], s[18:19], v[98:99]
	v_fma_f64 v[114:115], v[100:101], s[14:15], -v[104:105]
	v_fma_f64 v[104:105], v[100:101], s[14:15], v[104:105]
	v_fma_f64 v[134:135], v[102:103], s[16:17], v[124:125]
	v_fma_f64 v[124:125], v[102:103], s[16:17], -v[124:125]
	v_add_f64_e32 v[116:117], v[44:45], v[116:117]
	v_add_f64_e32 v[174:175], v[44:45], v[106:107]
	;; [unrolled: 1-line block ×4, first 2 shown]
	v_mul_f64_e32 v[106:107], s[22:23], v[154:155]
	v_fma_f64 v[110:111], v[100:101], s[2:3], -v[96:97]
	v_fma_f64 v[96:97], v[100:101], s[2:3], v[96:97]
	v_fma_f64 v[100:101], v[100:101], s[8:9], v[108:109]
	v_mul_f64_e32 v[108:109], s[26:27], v[172:173]
	v_add_f64_e32 v[90:91], v[120:121], v[90:91]
	v_mul_f64_e32 v[120:121], s[34:35], v[172:173]
	v_add_f64_e32 v[112:113], v[44:45], v[112:113]
	v_add_f64_e32 v[170:171], v[44:45], v[98:99]
	;; [unrolled: 1-line block ×6, first 2 shown]
	v_mul_f64_e32 v[104:105], s[20:21], v[160:161]
	v_add_f64_e32 v[110:111], v[44:45], v[110:111]
	v_add_f64_e32 v[178:179], v[44:45], v[100:101]
	v_fma_f64 v[128:129], v[102:103], s[2:3], v[108:109]
	v_fma_f64 v[108:109], v[102:103], s[2:3], -v[108:109]
	v_fma_f64 v[130:131], v[102:103], s[18:19], v[120:121]
	v_fma_f64 v[120:121], v[102:103], s[18:19], -v[120:121]
	v_fma_f64 v[102:103], v[102:103], s[8:9], -v[126:127]
	v_mul_f64_e32 v[100:101], s[34:35], v[164:165]
	v_add_f64_e32 v[126:127], v[46:47], v[128:129]
	v_add_f64_e32 v[128:129], v[44:45], v[96:97]
	v_mul_f64_e32 v[44:45], s[34:35], v[166:167]
	v_add_f64_e32 v[108:109], v[46:47], v[108:109]
	v_add_f64_e32 v[130:131], v[46:47], v[130:131]
	;; [unrolled: 1-line block ×4, first 2 shown]
	v_mul_f64_e32 v[102:103], s[20:21], v[162:163]
	v_fma_f64 v[96:97], v[158:159], s[18:19], v[100:101]
	v_fma_f64 v[100:101], v[158:159], s[18:19], -v[100:101]
	v_fma_f64 v[46:47], v[156:157], s[18:19], -v[44:45]
	v_fma_f64 v[44:45], v[156:157], s[18:19], v[44:45]
	v_fma_f64 v[98:99], v[148:149], s[14:15], -v[102:103]
	v_add_f64_e32 v[96:97], v[96:97], v[126:127]
	v_fma_f64 v[102:103], v[148:149], s[14:15], v[102:103]
	v_add_f64_e32 v[100:101], v[100:101], v[108:109]
	v_mul_f64_e32 v[108:109], s[22:23], v[164:165]
	v_add_f64_e32 v[46:47], v[46:47], v[110:111]
	v_mul_f64_e32 v[110:111], s[22:23], v[152:153]
	;; [unrolled: 2-line block ×3, first 2 shown]
	s_delay_alu instid0(VALU_DEP_4) | instskip(SKIP_1) | instid1(VALU_DEP_4)
	v_add_f64_e32 v[46:47], v[98:99], v[46:47]
	v_fma_f64 v[98:99], v[150:151], s[14:15], v[104:105]
	v_add_f64_e32 v[44:45], v[102:103], v[44:45]
	v_fma_f64 v[102:103], v[150:151], s[14:15], -v[104:105]
	v_fma_f64 v[104:105], v[158:159], s[16:17], v[108:109]
	v_fma_f64 v[108:109], v[158:159], s[16:17], -v[108:109]
	v_add_f64_e32 v[96:97], v[98:99], v[96:97]
	v_fma_f64 v[98:99], v[144:145], s[16:17], -v[106:107]
	v_add_f64_e32 v[100:101], v[102:103], v[100:101]
	v_fma_f64 v[102:103], v[144:145], s[16:17], v[106:107]
	v_add_f64_e32 v[104:105], v[104:105], v[130:131]
	v_add_f64_e32 v[108:109], v[108:109], v[120:121]
	v_mul_f64_e32 v[120:121], s[30:31], v[162:163]
	v_add_f64_e32 v[46:47], v[98:99], v[46:47]
	v_fma_f64 v[98:99], v[146:147], s[16:17], v[110:111]
	v_add_f64_e32 v[44:45], v[102:103], v[44:45]
	v_fma_f64 v[102:103], v[146:147], s[16:17], -v[110:111]
	v_mul_f64_e32 v[110:111], s[38:39], v[162:163]
	s_delay_alu instid0(VALU_DEP_4) | instskip(SKIP_1) | instid1(VALU_DEP_4)
	v_add_f64_e32 v[98:99], v[98:99], v[96:97]
	v_fma_f64 v[96:97], v[140:141], s[8:9], -v[118:119]
	v_add_f64_e32 v[100:101], v[102:103], v[100:101]
	v_fma_f64 v[102:103], v[140:141], s[8:9], v[118:119]
	v_fma_f64 v[106:107], v[148:149], s[8:9], -v[110:111]
	v_mul_f64_e32 v[118:119], s[36:37], v[154:155]
	v_fma_f64 v[110:111], v[148:149], s[8:9], v[110:111]
	v_add_f64_e32 v[96:97], v[96:97], v[46:47]
	v_mul_f64_e32 v[46:47], s[24:25], v[136:137]
	v_add_f64_e32 v[44:45], v[102:103], v[44:45]
	s_delay_alu instid0(VALU_DEP_2) | instskip(SKIP_1) | instid1(VALU_DEP_2)
	v_fma_f64 v[126:127], v[142:143], s[8:9], v[46:47]
	v_fma_f64 v[46:47], v[142:143], s[8:9], -v[46:47]
	v_add_f64_e32 v[98:99], v[126:127], v[98:99]
	s_delay_alu instid0(VALU_DEP_2) | instskip(SKIP_2) | instid1(VALU_DEP_2)
	v_add_f64_e32 v[46:47], v[46:47], v[100:101]
	v_mul_f64_e32 v[100:101], s[22:23], v[166:167]
	v_mul_f64_e32 v[126:127], s[36:37], v[152:153]
	v_fma_f64 v[102:103], v[156:157], s[16:17], -v[100:101]
	v_fma_f64 v[100:101], v[156:157], s[16:17], v[100:101]
	s_delay_alu instid0(VALU_DEP_2) | instskip(SKIP_1) | instid1(VALU_DEP_3)
	v_add_f64_e32 v[102:103], v[102:103], v[112:113]
	v_mul_f64_e32 v[112:113], s[38:39], v[160:161]
	v_add_f64_e32 v[100:101], v[100:101], v[170:171]
	s_delay_alu instid0(VALU_DEP_3) | instskip(NEXT) | instid1(VALU_DEP_3)
	v_add_f64_e32 v[102:103], v[106:107], v[102:103]
	v_fma_f64 v[106:107], v[150:151], s[8:9], v[112:113]
	s_delay_alu instid0(VALU_DEP_3) | instskip(SKIP_1) | instid1(VALU_DEP_3)
	v_add_f64_e32 v[100:101], v[110:111], v[100:101]
	v_fma_f64 v[110:111], v[150:151], s[8:9], -v[112:113]
	v_add_f64_e32 v[104:105], v[106:107], v[104:105]
	v_fma_f64 v[106:107], v[144:145], s[14:15], -v[118:119]
	s_delay_alu instid0(VALU_DEP_3) | instskip(SKIP_2) | instid1(VALU_DEP_4)
	v_add_f64_e32 v[108:109], v[110:111], v[108:109]
	v_fma_f64 v[110:111], v[144:145], s[14:15], v[118:119]
	v_mul_f64_e32 v[118:119], s[38:39], v[164:165]
	v_add_f64_e32 v[102:103], v[106:107], v[102:103]
	v_fma_f64 v[106:107], v[146:147], s[14:15], v[126:127]
	s_delay_alu instid0(VALU_DEP_4)
	v_add_f64_e32 v[100:101], v[110:111], v[100:101]
	v_fma_f64 v[110:111], v[146:147], s[14:15], -v[126:127]
	v_fma_f64 v[112:113], v[158:159], s[8:9], v[118:119]
	v_mul_f64_e32 v[126:127], s[30:31], v[160:161]
	v_fma_f64 v[118:119], v[158:159], s[8:9], -v[118:119]
	v_add_f64_e32 v[106:107], v[106:107], v[104:105]
	v_fma_f64 v[104:105], v[140:141], s[2:3], -v[128:129]
	v_add_f64_e32 v[108:109], v[110:111], v[108:109]
	v_fma_f64 v[110:111], v[140:141], s[2:3], v[128:129]
	v_add_f64_e32 v[112:113], v[112:113], v[132:133]
	v_mul_f64_e32 v[128:129], s[26:27], v[154:155]
	v_mul_f64_e32 v[132:133], s[22:23], v[138:139]
	v_add_f64_e32 v[118:119], v[118:119], v[122:123]
	v_add_f64_e32 v[104:105], v[104:105], v[102:103]
	v_mul_f64_e32 v[102:103], s[28:29], v[136:137]
	v_add_f64_e32 v[100:101], v[110:111], v[100:101]
	s_delay_alu instid0(VALU_DEP_2) | instskip(SKIP_1) | instid1(VALU_DEP_2)
	v_fma_f64 v[130:131], v[142:143], s[2:3], v[102:103]
	v_fma_f64 v[102:103], v[142:143], s[2:3], -v[102:103]
	v_add_f64_e32 v[106:107], v[130:131], v[106:107]
	s_delay_alu instid0(VALU_DEP_2) | instskip(SKIP_2) | instid1(VALU_DEP_2)
	v_add_f64_e32 v[102:103], v[102:103], v[108:109]
	v_mul_f64_e32 v[108:109], s[38:39], v[166:167]
	v_mul_f64_e32 v[130:131], s[26:27], v[152:153]
	v_fma_f64 v[110:111], v[156:157], s[8:9], -v[108:109]
	v_fma_f64 v[108:109], v[156:157], s[8:9], v[108:109]
	s_delay_alu instid0(VALU_DEP_2) | instskip(SKIP_1) | instid1(VALU_DEP_3)
	v_add_f64_e32 v[110:111], v[110:111], v[114:115]
	v_fma_f64 v[114:115], v[148:149], s[18:19], -v[120:121]
	v_add_f64_e32 v[108:109], v[108:109], v[172:173]
	v_fma_f64 v[120:121], v[148:149], s[18:19], v[120:121]
	s_delay_alu instid0(VALU_DEP_3) | instskip(SKIP_1) | instid1(VALU_DEP_3)
	v_add_f64_e32 v[110:111], v[114:115], v[110:111]
	v_fma_f64 v[114:115], v[150:151], s[18:19], v[126:127]
	v_add_f64_e32 v[108:109], v[120:121], v[108:109]
	v_fma_f64 v[120:121], v[150:151], s[18:19], -v[126:127]
	v_mul_f64_e32 v[126:127], s[36:37], v[164:165]
	s_delay_alu instid0(VALU_DEP_4) | instskip(SKIP_1) | instid1(VALU_DEP_4)
	v_add_f64_e32 v[112:113], v[114:115], v[112:113]
	v_fma_f64 v[114:115], v[144:145], s[2:3], -v[128:129]
	v_add_f64_e32 v[118:119], v[120:121], v[118:119]
	v_fma_f64 v[120:121], v[144:145], s[2:3], v[128:129]
	v_mul_f64_e32 v[128:129], s[26:27], v[162:163]
	s_delay_alu instid0(VALU_DEP_4) | instskip(SKIP_1) | instid1(VALU_DEP_4)
	v_add_f64_e32 v[110:111], v[114:115], v[110:111]
	v_fma_f64 v[114:115], v[146:147], s[2:3], v[130:131]
	v_add_f64_e32 v[108:109], v[120:121], v[108:109]
	v_fma_f64 v[120:121], v[146:147], s[2:3], -v[130:131]
	v_fma_f64 v[122:123], v[148:149], s[2:3], -v[128:129]
	v_mul_f64_e32 v[130:131], s[26:27], v[160:161]
	v_add_f64_e32 v[114:115], v[114:115], v[112:113]
	v_fma_f64 v[112:113], v[140:141], s[16:17], -v[132:133]
	v_add_f64_e32 v[118:119], v[120:121], v[118:119]
	v_fma_f64 v[120:121], v[140:141], s[16:17], v[132:133]
	v_mul_f64_e32 v[132:133], s[24:25], v[154:155]
	v_mul_f64_e32 v[154:155], s[30:31], v[154:155]
	v_add_f64_e32 v[112:113], v[112:113], v[110:111]
	v_mul_f64_e32 v[110:111], s[22:23], v[136:137]
	v_add_f64_e32 v[108:109], v[120:121], v[108:109]
	s_delay_alu instid0(VALU_DEP_2) | instskip(SKIP_1) | instid1(VALU_DEP_2)
	v_fma_f64 v[170:171], v[142:143], s[16:17], v[110:111]
	v_fma_f64 v[110:111], v[142:143], s[16:17], -v[110:111]
	v_add_f64_e32 v[114:115], v[170:171], v[114:115]
	s_delay_alu instid0(VALU_DEP_2) | instskip(SKIP_3) | instid1(VALU_DEP_3)
	v_add_f64_e32 v[110:111], v[110:111], v[118:119]
	v_mul_f64_e32 v[118:119], s[36:37], v[166:167]
	v_mul_f64_e32 v[170:171], s[30:31], v[138:139]
	;; [unrolled: 1-line block ×3, first 2 shown]
	v_fma_f64 v[120:121], v[156:157], s[14:15], -v[118:119]
	v_fma_f64 v[118:119], v[156:157], s[14:15], v[118:119]
	s_delay_alu instid0(VALU_DEP_2) | instskip(SKIP_2) | instid1(VALU_DEP_4)
	v_add_f64_e32 v[116:117], v[120:121], v[116:117]
	v_fma_f64 v[120:121], v[158:159], s[14:15], v[126:127]
	v_fma_f64 v[126:127], v[158:159], s[14:15], -v[126:127]
	v_add_f64_e32 v[118:119], v[118:119], v[174:175]
	s_delay_alu instid0(VALU_DEP_4) | instskip(NEXT) | instid1(VALU_DEP_4)
	v_add_f64_e32 v[116:117], v[122:123], v[116:117]
	v_add_f64_e32 v[120:121], v[120:121], v[134:135]
	v_fma_f64 v[122:123], v[150:151], s[2:3], v[130:131]
	v_mul_f64_e32 v[134:135], s[24:25], v[152:153]
	v_add_f64_e32 v[124:125], v[126:127], v[124:125]
	v_fma_f64 v[126:127], v[148:149], s[2:3], v[128:129]
	v_mul_f64_e32 v[152:153], s[30:31], v[152:153]
	v_add_f64_e32 v[120:121], v[122:123], v[120:121]
	v_fma_f64 v[122:123], v[144:145], s[8:9], -v[132:133]
	s_delay_alu instid0(VALU_DEP_4) | instskip(SKIP_2) | instid1(VALU_DEP_4)
	v_add_f64_e32 v[118:119], v[126:127], v[118:119]
	v_fma_f64 v[126:127], v[150:151], s[2:3], -v[130:131]
	v_mul_f64_e32 v[130:131], s[28:29], v[164:165]
	v_add_f64_e32 v[116:117], v[122:123], v[116:117]
	v_fma_f64 v[122:123], v[146:147], s[8:9], v[134:135]
	s_delay_alu instid0(VALU_DEP_4) | instskip(SKIP_2) | instid1(VALU_DEP_4)
	v_add_f64_e32 v[124:125], v[126:127], v[124:125]
	v_fma_f64 v[126:127], v[144:145], s[8:9], v[132:133]
	v_mul_f64_e32 v[132:133], s[22:23], v[162:163]
	v_add_f64_e32 v[122:123], v[122:123], v[120:121]
	v_fma_f64 v[120:121], v[140:141], s[18:19], -v[170:171]
	s_delay_alu instid0(VALU_DEP_4)
	v_add_f64_e32 v[118:119], v[126:127], v[118:119]
	v_fma_f64 v[126:127], v[146:147], s[8:9], -v[134:135]
	v_fma_f64 v[134:135], v[148:149], s[16:17], -v[132:133]
	v_fma_f64 v[132:133], v[148:149], s[16:17], v[132:133]
	v_add_f64_e32 v[148:149], v[10:11], v[38:39]
	v_add_f64_e32 v[120:121], v[120:121], v[116:117]
	v_mul_f64_e32 v[116:117], s[30:31], v[136:137]
	v_mul_f64_e32 v[136:137], s[20:21], v[136:137]
	v_add_f64_e32 v[124:125], v[126:127], v[124:125]
	v_fma_f64 v[126:127], v[140:141], s[18:19], v[170:171]
	v_fma_f64 v[225:226], v[148:149], s[8:9], v[223:224]
	v_fma_f64 v[128:129], v[142:143], s[18:19], -v[116:117]
	v_fma_f64 v[172:173], v[142:143], s[18:19], v[116:117]
	s_delay_alu instid0(VALU_DEP_4)
	v_add_f64_e32 v[116:117], v[126:127], v[118:119]
	v_fma_f64 v[126:127], v[158:159], s[2:3], v[130:131]
	v_fma_f64 v[130:131], v[158:159], s[2:3], -v[130:131]
	v_add_f64_e32 v[158:159], v[14:15], v[22:23]
	v_add_f64_e32 v[118:119], v[128:129], v[124:125]
	v_mul_f64_e32 v[128:129], s[28:29], v[166:167]
	v_add_f64_e32 v[166:167], v[18:19], v[26:27]
	v_add_f64_e32 v[122:123], v[172:173], v[122:123]
	;; [unrolled: 1-line block ×4, first 2 shown]
	v_mul_f64_e32 v[180:181], s[38:39], v[201:202]
	v_fma_f64 v[124:125], v[156:157], s[2:3], -v[128:129]
	v_fma_f64 v[128:129], v[156:157], s[2:3], v[128:129]
	s_delay_alu instid0(VALU_DEP_2) | instskip(NEXT) | instid1(VALU_DEP_2)
	v_add_f64_e32 v[124:125], v[124:125], v[176:177]
	v_add_f64_e32 v[128:129], v[128:129], v[178:179]
	s_delay_alu instid0(VALU_DEP_2) | instskip(SKIP_1) | instid1(VALU_DEP_3)
	v_add_f64_e32 v[124:125], v[134:135], v[124:125]
	v_mul_f64_e32 v[134:135], s[22:23], v[160:161]
	v_add_f64_e32 v[128:129], v[132:133], v[128:129]
	v_fma_f64 v[132:133], v[144:145], s[18:19], v[154:155]
	s_delay_alu instid0(VALU_DEP_3) | instskip(SKIP_1) | instid1(VALU_DEP_3)
	v_fma_f64 v[160:161], v[150:151], s[16:17], v[134:135]
	v_fma_f64 v[134:135], v[150:151], s[16:17], -v[134:135]
	v_add_f64_e32 v[128:129], v[132:133], v[128:129]
	v_fma_f64 v[132:133], v[140:141], s[14:15], v[138:139]
	v_add_f64_e32 v[150:151], v[6:7], v[42:43]
	v_add_f64_e32 v[126:127], v[160:161], v[126:127]
	v_fma_f64 v[160:161], v[144:145], s[18:19], -v[154:155]
	v_add_f64_e32 v[130:131], v[134:135], v[130:131]
	v_fma_f64 v[134:135], v[146:147], s[18:19], -v[152:153]
	v_add_f64_e32 v[128:129], v[132:133], v[128:129]
	v_mul_f64_e32 v[144:145], s[26:27], v[197:198]
	v_add_f64_e32 v[124:125], v[160:161], v[124:125]
	v_fma_f64 v[160:161], v[146:147], s[18:19], v[152:153]
	v_add_f64_e32 v[130:131], v[134:135], v[130:131]
	v_fma_f64 v[134:135], v[142:143], s[14:15], -v[136:137]
	s_delay_alu instid0(VALU_DEP_3) | instskip(SKIP_1) | instid1(VALU_DEP_3)
	v_add_f64_e32 v[126:127], v[160:161], v[126:127]
	v_fma_f64 v[160:161], v[140:141], s[14:15], -v[138:139]
	v_add_f64_e32 v[130:131], v[134:135], v[130:131]
	v_mul_f64_e32 v[134:135], s[26:27], v[192:193]
	v_add_f64_e32 v[138:139], v[8:9], v[36:37]
	s_delay_alu instid0(VALU_DEP_4) | instskip(SKIP_2) | instid1(VALU_DEP_2)
	v_add_f64_e32 v[124:125], v[160:161], v[124:125]
	v_fma_f64 v[160:161], v[142:143], s[14:15], v[136:137]
	v_add_f64_e32 v[136:137], v[4:5], v[40:41]
	v_add_f64_e32 v[126:127], v[160:161], v[126:127]
	s_delay_alu instid0(VALU_DEP_2) | instskip(NEXT) | instid1(VALU_DEP_1)
	v_fma_f64 v[132:133], v[136:137], s[2:3], v[134:135]
	v_add_f64_e32 v[140:141], v[0:1], v[132:133]
	v_mul_f64_e32 v[132:133], s[34:35], v[194:195]
	s_delay_alu instid0(VALU_DEP_1) | instskip(NEXT) | instid1(VALU_DEP_1)
	v_fma_f64 v[142:143], v[138:139], s[18:19], v[132:133]
	v_add_f64_e32 v[152:153], v[142:143], v[140:141]
	v_fma_f64 v[140:141], v[150:151], s[2:3], -v[144:145]
	v_mul_f64_e32 v[142:143], s[34:35], v[199:200]
	s_delay_alu instid0(VALU_DEP_2) | instskip(NEXT) | instid1(VALU_DEP_2)
	v_add_f64_e32 v[140:141], v[2:3], v[140:141]
	v_fma_f64 v[146:147], v[148:149], s[18:19], -v[142:143]
	s_delay_alu instid0(VALU_DEP_1) | instskip(SKIP_2) | instid1(VALU_DEP_1)
	v_add_f64_e32 v[156:157], v[146:147], v[140:141]
	v_add_f64_e32 v[146:147], v[12:13], v[20:21]
	v_mul_f64_e32 v[140:141], s[20:21], v[201:202]
	v_fma_f64 v[154:155], v[146:147], s[14:15], v[140:141]
	s_delay_alu instid0(VALU_DEP_1) | instskip(SKIP_1) | instid1(VALU_DEP_1)
	v_add_f64_e32 v[160:161], v[154:155], v[152:153]
	v_mul_f64_e32 v[154:155], s[20:21], v[203:204]
	v_fma_f64 v[152:153], v[158:159], s[14:15], -v[154:155]
	s_delay_alu instid0(VALU_DEP_1) | instskip(SKIP_2) | instid1(VALU_DEP_1)
	v_add_f64_e32 v[162:163], v[152:153], v[156:157]
	v_add_f64_e32 v[156:157], v[16:17], v[24:25]
	v_mul_f64_e32 v[152:153], s[22:23], v[205:206]
	v_fma_f64 v[164:165], v[156:157], s[16:17], v[152:153]
	s_delay_alu instid0(VALU_DEP_1) | instskip(SKIP_1) | instid1(VALU_DEP_1)
	v_add_f64_e32 v[168:169], v[164:165], v[160:161]
	v_mul_f64_e32 v[160:161], s[22:23], v[207:208]
	v_fma_f64 v[164:165], v[166:167], s[16:17], -v[160:161]
	s_delay_alu instid0(VALU_DEP_1) | instskip(SKIP_2) | instid1(VALU_DEP_1)
	v_add_f64_e32 v[172:173], v[164:165], v[162:163]
	v_add_f64_e32 v[164:165], v[32:33], v[28:29]
	v_mul_f64_e32 v[162:163], s[24:25], v[209:210]
	v_fma_f64 v[170:171], v[164:165], s[8:9], v[162:163]
	s_delay_alu instid0(VALU_DEP_1) | instskip(SKIP_2) | instid1(VALU_DEP_1)
	v_add_f64_e32 v[176:177], v[170:171], v[168:169]
	v_add_f64_e32 v[170:171], v[34:35], v[30:31]
	v_mul_f64_e32 v[168:169], s[24:25], v[211:212]
	v_fma_f64 v[174:175], v[170:171], s[8:9], -v[168:169]
	s_delay_alu instid0(VALU_DEP_1)
	v_add_f64_e32 v[178:179], v[174:175], v[172:173]
	v_fma_f64 v[172:173], v[136:137], s[18:19], v[186:187]
	v_fma_f64 v[174:175], v[138:139], s[16:17], v[184:185]
	scratch_store_b128 off, v[176:179], off offset:8 ; 16-byte Folded Spill
	v_add_f64_e32 v[172:173], v[0:1], v[172:173]
	v_fma_f64 v[176:177], v[148:149], s[16:17], -v[188:189]
	s_delay_alu instid0(VALU_DEP_2) | instskip(SKIP_1) | instid1(VALU_DEP_1)
	v_add_f64_e32 v[172:173], v[174:175], v[172:173]
	v_fma_f64 v[174:175], v[150:151], s[18:19], -v[190:191]
	v_add_f64_e32 v[174:175], v[2:3], v[174:175]
	s_delay_alu instid0(VALU_DEP_1) | instskip(SKIP_1) | instid1(VALU_DEP_1)
	v_add_f64_e32 v[174:175], v[176:177], v[174:175]
	v_fma_f64 v[176:177], v[146:147], s[8:9], v[180:181]
	v_add_f64_e32 v[172:173], v[176:177], v[172:173]
	v_fma_f64 v[176:177], v[158:159], s[8:9], -v[182:183]
	s_delay_alu instid0(VALU_DEP_1) | instskip(SKIP_1) | instid1(VALU_DEP_1)
	v_add_f64_e32 v[176:177], v[176:177], v[174:175]
	v_mul_f64_e32 v[174:175], s[36:37], v[205:206]
	v_fma_f64 v[178:179], v[156:157], s[14:15], v[174:175]
	s_delay_alu instid0(VALU_DEP_1) | instskip(SKIP_1) | instid1(VALU_DEP_1)
	v_add_f64_e32 v[213:214], v[178:179], v[172:173]
	v_mul_f64_e32 v[178:179], s[36:37], v[207:208]
	v_fma_f64 v[172:173], v[166:167], s[14:15], -v[178:179]
	s_delay_alu instid0(VALU_DEP_1) | instskip(SKIP_1) | instid1(VALU_DEP_1)
	v_add_f64_e32 v[215:216], v[172:173], v[176:177]
	v_mul_f64_e32 v[172:173], s[28:29], v[209:210]
	v_fma_f64 v[176:177], v[164:165], s[2:3], v[172:173]
	s_delay_alu instid0(VALU_DEP_1) | instskip(SKIP_1) | instid1(VALU_DEP_1)
	v_add_f64_e32 v[217:218], v[176:177], v[213:214]
	v_mul_f64_e32 v[176:177], s[28:29], v[211:212]
	v_fma_f64 v[213:214], v[170:171], s[2:3], -v[176:177]
	s_delay_alu instid0(VALU_DEP_1)
	v_add_f64_e32 v[219:220], v[213:214], v[215:216]
	v_mul_f64_e32 v[213:214], s[20:21], v[192:193]
	scratch_store_b128 off, v[217:220], off offset:24 ; 16-byte Folded Spill
	v_fma_f64 v[215:216], v[136:137], s[14:15], -v[213:214]
	v_mul_f64_e32 v[217:218], s[38:39], v[194:195]
	v_fma_f64 v[213:214], v[136:137], s[14:15], v[213:214]
	s_delay_alu instid0(VALU_DEP_3) | instskip(NEXT) | instid1(VALU_DEP_3)
	v_add_f64_e32 v[215:216], v[0:1], v[215:216]
	v_fma_f64 v[219:220], v[138:139], s[8:9], -v[217:218]
	s_delay_alu instid0(VALU_DEP_3) | instskip(SKIP_1) | instid1(VALU_DEP_3)
	v_add_f64_e32 v[213:214], v[0:1], v[213:214]
	v_fma_f64 v[217:218], v[138:139], s[8:9], v[217:218]
	v_add_f64_e32 v[215:216], v[219:220], v[215:216]
	v_mul_f64_e32 v[219:220], s[20:21], v[197:198]
	s_delay_alu instid0(VALU_DEP_3) | instskip(NEXT) | instid1(VALU_DEP_2)
	v_add_f64_e32 v[213:214], v[217:218], v[213:214]
	v_fma_f64 v[221:222], v[150:151], s[14:15], v[219:220]
	v_fma_f64 v[217:218], v[150:151], s[14:15], -v[219:220]
	v_fma_f64 v[219:220], v[148:149], s[8:9], -v[223:224]
	v_mul_f64_e32 v[223:224], s[36:37], v[199:200]
	v_mul_f64_e32 v[199:200], s[28:29], v[199:200]
	v_add_f64_e32 v[221:222], v[2:3], v[221:222]
	v_add_f64_e32 v[217:218], v[2:3], v[217:218]
	s_delay_alu instid0(VALU_DEP_2) | instskip(SKIP_1) | instid1(VALU_DEP_3)
	v_add_f64_e32 v[221:222], v[225:226], v[221:222]
	v_mul_f64_e32 v[225:226], s[30:31], v[201:202]
	v_add_f64_e32 v[217:218], v[219:220], v[217:218]
	s_delay_alu instid0(VALU_DEP_2) | instskip(SKIP_2) | instid1(VALU_DEP_3)
	v_fma_f64 v[227:228], v[146:147], s[18:19], -v[225:226]
	v_fma_f64 v[219:220], v[146:147], s[18:19], v[225:226]
	v_fma_f64 v[225:226], v[148:149], s[14:15], v[223:224]
	v_add_f64_e32 v[215:216], v[227:228], v[215:216]
	v_mul_f64_e32 v[227:228], s[30:31], v[203:204]
	s_delay_alu instid0(VALU_DEP_4) | instskip(NEXT) | instid1(VALU_DEP_2)
	v_add_f64_e32 v[213:214], v[219:220], v[213:214]
	v_fma_f64 v[229:230], v[158:159], s[18:19], v[227:228]
	v_fma_f64 v[219:220], v[158:159], s[18:19], -v[227:228]
	s_delay_alu instid0(VALU_DEP_2) | instskip(SKIP_1) | instid1(VALU_DEP_3)
	v_add_f64_e32 v[221:222], v[229:230], v[221:222]
	v_mul_f64_e32 v[229:230], s[26:27], v[205:206]
	v_add_f64_e32 v[217:218], v[219:220], v[217:218]
	s_delay_alu instid0(VALU_DEP_2) | instskip(SKIP_1) | instid1(VALU_DEP_2)
	v_fma_f64 v[231:232], v[156:157], s[2:3], -v[229:230]
	v_fma_f64 v[219:220], v[156:157], s[2:3], v[229:230]
	v_add_f64_e32 v[215:216], v[231:232], v[215:216]
	v_mul_f64_e32 v[231:232], s[26:27], v[207:208]
	s_delay_alu instid0(VALU_DEP_3) | instskip(NEXT) | instid1(VALU_DEP_2)
	v_add_f64_e32 v[213:214], v[219:220], v[213:214]
	v_fma_f64 v[233:234], v[166:167], s[2:3], v[231:232]
	v_fma_f64 v[219:220], v[166:167], s[2:3], -v[231:232]
	s_delay_alu instid0(VALU_DEP_2) | instskip(SKIP_1) | instid1(VALU_DEP_3)
	v_add_f64_e32 v[221:222], v[233:234], v[221:222]
	v_mul_f64_e32 v[233:234], s[22:23], v[209:210]
	v_add_f64_e32 v[217:218], v[219:220], v[217:218]
	s_delay_alu instid0(VALU_DEP_2) | instskip(SKIP_1) | instid1(VALU_DEP_2)
	v_fma_f64 v[235:236], v[164:165], s[16:17], -v[233:234]
	v_fma_f64 v[219:220], v[164:165], s[16:17], v[233:234]
	v_add_f64_e32 v[238:239], v[235:236], v[215:216]
	v_mul_f64_e32 v[215:216], s[22:23], v[211:212]
	s_delay_alu instid0(VALU_DEP_3) | instskip(NEXT) | instid1(VALU_DEP_2)
	v_add_f64_e32 v[213:214], v[219:220], v[213:214]
	v_fma_f64 v[235:236], v[170:171], s[16:17], v[215:216]
	v_fma_f64 v[215:216], v[170:171], s[16:17], -v[215:216]
	s_delay_alu instid0(VALU_DEP_2) | instskip(NEXT) | instid1(VALU_DEP_2)
	v_add_f64_e32 v[240:241], v[235:236], v[221:222]
	v_add_f64_e32 v[215:216], v[215:216], v[217:218]
	v_mul_f64_e32 v[217:218], s[36:37], v[194:195]
	v_mul_f64_e32 v[194:195], s[28:29], v[194:195]
	s_clause 0x1
	scratch_store_b128 off, v[238:241], off offset:56
	scratch_store_b128 off, v[213:216], off offset:40
	v_mul_f64_e32 v[213:214], s[22:23], v[192:193]
	v_fma_f64 v[219:220], v[138:139], s[14:15], -v[217:218]
	v_fma_f64 v[217:218], v[138:139], s[14:15], v[217:218]
	v_mul_f64_e32 v[192:193], s[24:25], v[192:193]
	s_delay_alu instid0(VALU_DEP_4) | instskip(SKIP_1) | instid1(VALU_DEP_2)
	v_fma_f64 v[215:216], v[136:137], s[16:17], -v[213:214]
	v_fma_f64 v[213:214], v[136:137], s[16:17], v[213:214]
	v_add_f64_e32 v[215:216], v[0:1], v[215:216]
	s_delay_alu instid0(VALU_DEP_2) | instskip(NEXT) | instid1(VALU_DEP_2)
	v_add_f64_e32 v[213:214], v[0:1], v[213:214]
	v_add_f64_e32 v[215:216], v[219:220], v[215:216]
	v_mul_f64_e32 v[219:220], s[22:23], v[197:198]
	s_delay_alu instid0(VALU_DEP_3) | instskip(SKIP_1) | instid1(VALU_DEP_3)
	v_add_f64_e32 v[213:214], v[217:218], v[213:214]
	v_mul_f64_e32 v[197:198], s[24:25], v[197:198]
	v_fma_f64 v[221:222], v[150:151], s[16:17], v[219:220]
	v_fma_f64 v[217:218], v[150:151], s[16:17], -v[219:220]
	v_fma_f64 v[219:220], v[148:149], s[14:15], -v[223:224]
	s_delay_alu instid0(VALU_DEP_3) | instskip(NEXT) | instid1(VALU_DEP_3)
	v_add_f64_e32 v[221:222], v[2:3], v[221:222]
	v_add_f64_e32 v[217:218], v[2:3], v[217:218]
	s_delay_alu instid0(VALU_DEP_2) | instskip(SKIP_1) | instid1(VALU_DEP_3)
	v_add_f64_e32 v[221:222], v[225:226], v[221:222]
	v_mul_f64_e32 v[225:226], s[26:27], v[201:202]
	v_add_f64_e32 v[217:218], v[219:220], v[217:218]
	v_mul_f64_e32 v[201:202], s[22:23], v[201:202]
	s_delay_alu instid0(VALU_DEP_3) | instskip(SKIP_1) | instid1(VALU_DEP_2)
	v_fma_f64 v[227:228], v[146:147], s[2:3], -v[225:226]
	v_fma_f64 v[219:220], v[146:147], s[2:3], v[225:226]
	v_add_f64_e32 v[215:216], v[227:228], v[215:216]
	v_mul_f64_e32 v[227:228], s[26:27], v[203:204]
	s_delay_alu instid0(VALU_DEP_3) | instskip(SKIP_1) | instid1(VALU_DEP_3)
	v_add_f64_e32 v[213:214], v[219:220], v[213:214]
	v_mul_f64_e32 v[203:204], s[22:23], v[203:204]
	v_fma_f64 v[229:230], v[158:159], s[2:3], v[227:228]
	v_fma_f64 v[219:220], v[158:159], s[2:3], -v[227:228]
	s_delay_alu instid0(VALU_DEP_2) | instskip(SKIP_1) | instid1(VALU_DEP_3)
	v_add_f64_e32 v[221:222], v[229:230], v[221:222]
	v_mul_f64_e32 v[229:230], s[24:25], v[205:206]
	v_add_f64_e32 v[217:218], v[219:220], v[217:218]
	v_mul_f64_e32 v[205:206], s[30:31], v[205:206]
	s_delay_alu instid0(VALU_DEP_3) | instskip(SKIP_1) | instid1(VALU_DEP_2)
	v_fma_f64 v[231:232], v[156:157], s[8:9], -v[229:230]
	v_fma_f64 v[219:220], v[156:157], s[8:9], v[229:230]
	v_add_f64_e32 v[215:216], v[231:232], v[215:216]
	v_mul_f64_e32 v[231:232], s[24:25], v[207:208]
	s_delay_alu instid0(VALU_DEP_3) | instskip(SKIP_1) | instid1(VALU_DEP_3)
	v_add_f64_e32 v[213:214], v[219:220], v[213:214]
	v_mul_f64_e32 v[207:208], s[30:31], v[207:208]
	v_fma_f64 v[233:234], v[166:167], s[8:9], v[231:232]
	v_fma_f64 v[219:220], v[166:167], s[8:9], -v[231:232]
	;; [unrolled: 15-line block ×3, first 2 shown]
	s_delay_alu instid0(VALU_DEP_2) | instskip(NEXT) | instid1(VALU_DEP_2)
	v_add_f64_e32 v[240:241], v[235:236], v[221:222]
	v_add_f64_e32 v[215:216], v[215:216], v[217:218]
	v_fma_f64 v[217:218], v[148:149], s[2:3], v[199:200]
	s_clause 0x1
	scratch_store_b128 off, v[238:241], off offset:72
	scratch_store_b128 off, v[213:216], off offset:88
	v_fma_f64 v[213:214], v[136:137], s[8:9], -v[192:193]
	v_fma_f64 v[215:216], v[138:139], s[2:3], -v[194:195]
	v_fma_f64 v[192:193], v[136:137], s[8:9], v[192:193]
	v_fma_f64 v[194:195], v[138:139], s[2:3], v[194:195]
	s_delay_alu instid0(VALU_DEP_4) | instskip(NEXT) | instid1(VALU_DEP_3)
	v_add_f64_e32 v[213:214], v[0:1], v[213:214]
	v_add_f64_e32 v[192:193], v[0:1], v[192:193]
	s_delay_alu instid0(VALU_DEP_2) | instskip(SKIP_1) | instid1(VALU_DEP_3)
	v_add_f64_e32 v[213:214], v[215:216], v[213:214]
	v_fma_f64 v[215:216], v[150:151], s[8:9], v[197:198]
	v_add_f64_e32 v[192:193], v[194:195], v[192:193]
	v_fma_f64 v[194:195], v[150:151], s[8:9], -v[197:198]
	v_fma_f64 v[197:198], v[148:149], s[2:3], -v[199:200]
	;; [unrolled: 1-line block ×3, first 2 shown]
	v_add_f64_e32 v[215:216], v[2:3], v[215:216]
	s_delay_alu instid0(VALU_DEP_4) | instskip(NEXT) | instid1(VALU_DEP_2)
	v_add_f64_e32 v[194:195], v[2:3], v[194:195]
	v_add_f64_e32 v[215:216], v[217:218], v[215:216]
	v_fma_f64 v[217:218], v[146:147], s[16:17], -v[201:202]
	s_delay_alu instid0(VALU_DEP_3) | instskip(SKIP_1) | instid1(VALU_DEP_3)
	v_add_f64_e32 v[194:195], v[197:198], v[194:195]
	v_fma_f64 v[197:198], v[146:147], s[16:17], v[201:202]
	v_add_f64_e32 v[213:214], v[217:218], v[213:214]
	v_fma_f64 v[217:218], v[158:159], s[16:17], v[203:204]
	s_delay_alu instid0(VALU_DEP_3) | instskip(SKIP_1) | instid1(VALU_DEP_3)
	v_add_f64_e32 v[192:193], v[197:198], v[192:193]
	v_fma_f64 v[197:198], v[158:159], s[16:17], -v[203:204]
	v_add_f64_e32 v[215:216], v[217:218], v[215:216]
	v_fma_f64 v[217:218], v[156:157], s[18:19], -v[205:206]
	s_delay_alu instid0(VALU_DEP_3) | instskip(SKIP_1) | instid1(VALU_DEP_3)
	v_add_f64_e32 v[194:195], v[197:198], v[194:195]
	v_fma_f64 v[197:198], v[156:157], s[18:19], v[205:206]
	v_add_f64_e32 v[213:214], v[217:218], v[213:214]
	v_fma_f64 v[217:218], v[166:167], s[18:19], v[207:208]
	s_delay_alu instid0(VALU_DEP_3) | instskip(SKIP_1) | instid1(VALU_DEP_3)
	v_add_f64_e32 v[192:193], v[197:198], v[192:193]
	v_fma_f64 v[197:198], v[166:167], s[18:19], -v[207:208]
	v_add_f64_e32 v[215:216], v[217:218], v[215:216]
	v_fma_f64 v[217:218], v[164:165], s[14:15], -v[209:210]
	s_delay_alu instid0(VALU_DEP_3) | instskip(SKIP_1) | instid1(VALU_DEP_3)
	v_add_f64_e32 v[194:195], v[197:198], v[194:195]
	v_fma_f64 v[197:198], v[164:165], s[14:15], v[209:210]
	v_add_f64_e32 v[217:218], v[217:218], v[213:214]
	v_fma_f64 v[213:214], v[170:171], s[14:15], v[211:212]
	s_delay_alu instid0(VALU_DEP_3) | instskip(SKIP_1) | instid1(VALU_DEP_3)
	v_add_f64_e32 v[192:193], v[197:198], v[192:193]
	v_add_f64_e32 v[194:195], v[199:200], v[194:195]
	;; [unrolled: 1-line block ×3, first 2 shown]
	scratch_store_b128 off, v[192:195], off offset:104 ; 16-byte Folded Spill
	v_mul_lo_u16 v192, v237, 11
	s_delay_alu instid0(VALU_DEP_1) | instskip(NEXT) | instid1(VALU_DEP_1)
	v_and_b32_e32 v192, 0xffff, v192
	v_lshlrev_b32_e32 v198, 4, v192
	v_add_co_u32 v192, s20, v237, 55
	scratch_store_b128 off, v[217:220], off offset:120 ; 16-byte Folded Spill
	global_wb scope:SCOPE_SE
	s_wait_storecnt 0x0
	s_wait_kmcnt 0x0
	s_barrier_signal -1
	s_barrier_wait -1
	global_inv scope:SCOPE_SE
	ds_store_b128 v198, v[48:51]
	ds_store_b128 v198, v[64:67] offset:16
	ds_store_b128 v198, v[60:63] offset:32
	;; [unrolled: 1-line block ×10, first 2 shown]
	v_mul_u32_u24_e32 v48, 11, v192
	s_delay_alu instid0(VALU_DEP_1)
	v_lshlrev_b32_e32 v199, 4, v48
	ds_store_b128 v199, v[56:59]
	ds_store_b128 v199, v[96:99] offset:16
	ds_store_b128 v199, v[104:107] offset:32
	ds_store_b128 v199, v[112:115] offset:48
	ds_store_b128 v199, v[120:123] offset:64
	ds_store_b128 v199, v[124:127] offset:80
	ds_store_b128 v199, v[128:131] offset:96
	ds_store_b128 v199, v[116:119] offset:112
	ds_store_b128 v199, v[108:111] offset:128
	ds_store_b128 v199, v[100:103] offset:144
	ds_store_b128 v199, v[44:47] offset:160
	v_add_co_u32 v104, null, 0x6e, v237
	s_wait_alu 0xf1ff
	v_add_co_ci_u32_e64 v44, null, 0, 0, s20
	s_delay_alu instid0(VALU_DEP_2)
	v_mul_u32_u24_e32 v44, 11, v104
	scratch_store_b32 off, v44, off offset:980 ; 4-byte Folded Spill
	s_and_saveexec_b32 s20, vcc_lo
	s_cbranch_execz .LBB0_7
; %bb.6:
	v_add_f64_e32 v[4:5], v[0:1], v[4:5]
	v_add_f64_e32 v[6:7], v[2:3], v[6:7]
	v_mul_f64_e32 v[44:45], s[18:19], v[148:149]
	v_mul_f64_e32 v[46:47], s[18:19], v[138:139]
	;; [unrolled: 1-line block ×4, first 2 shown]
	v_add_f64_e32 v[4:5], v[4:5], v[8:9]
	v_add_f64_e32 v[6:7], v[6:7], v[10:11]
	v_mul_f64_e32 v[8:9], s[18:19], v[150:151]
	v_mul_f64_e32 v[10:11], s[18:19], v[136:137]
	v_add_f64_e32 v[44:45], v[142:143], v[44:45]
	v_add_f64_e64 v[46:47], v[46:47], -v[132:133]
	v_add_f64_e32 v[50:51], v[182:183], v[50:51]
	v_add_f64_e64 v[48:49], v[48:49], -v[180:181]
	v_add_f64_e32 v[4:5], v[4:5], v[12:13]
	v_add_f64_e32 v[6:7], v[6:7], v[14:15]
	v_mul_f64_e32 v[12:13], s[2:3], v[150:151]
	v_mul_f64_e32 v[14:15], s[2:3], v[136:137]
	v_add_f64_e32 v[8:9], v[190:191], v[8:9]
	v_add_f64_e64 v[10:11], v[10:11], -v[186:187]
	v_add_f64_e32 v[4:5], v[4:5], v[16:17]
	v_add_f64_e32 v[6:7], v[6:7], v[18:19]
	v_mul_f64_e32 v[16:17], s[16:17], v[148:149]
	v_add_f64_e32 v[12:13], v[144:145], v[12:13]
	v_add_f64_e64 v[14:15], v[14:15], -v[134:135]
	v_mul_f64_e32 v[18:19], s[16:17], v[138:139]
	v_add_f64_e32 v[8:9], v[2:3], v[8:9]
	v_add_f64_e32 v[10:11], v[0:1], v[10:11]
	;; [unrolled: 1-line block ×4, first 2 shown]
	v_mul_f64_e32 v[32:33], s[14:15], v[146:147]
	v_mul_f64_e32 v[34:35], s[14:15], v[158:159]
	v_add_f64_e32 v[16:17], v[188:189], v[16:17]
	v_add_f64_e32 v[2:3], v[2:3], v[12:13]
	;; [unrolled: 1-line block ×3, first 2 shown]
	v_add_f64_e64 v[18:19], v[18:19], -v[184:185]
	v_mul_f64_e32 v[12:13], s[16:17], v[156:157]
	v_mul_f64_e32 v[14:15], s[16:17], v[166:167]
	v_add_f64_e32 v[4:5], v[4:5], v[28:29]
	v_add_f64_e32 v[6:7], v[6:7], v[30:31]
	v_mul_f64_e32 v[30:31], s[14:15], v[166:167]
	v_add_f64_e32 v[34:35], v[154:155], v[34:35]
	v_add_f64_e64 v[32:33], v[32:33], -v[140:141]
	v_add_f64_e32 v[8:9], v[16:17], v[8:9]
	v_add_f64_e32 v[2:3], v[44:45], v[2:3]
	;; [unrolled: 1-line block ×4, first 2 shown]
	v_mul_f64_e32 v[16:17], s[8:9], v[164:165]
	v_mul_f64_e32 v[18:19], s[8:9], v[170:171]
	v_add_f64_e32 v[14:15], v[160:161], v[14:15]
	v_add_f64_e64 v[12:13], v[12:13], -v[152:153]
	v_mul_f64_e32 v[28:29], s[14:15], v[156:157]
	v_add_f64_e32 v[4:5], v[4:5], v[24:25]
	v_add_f64_e32 v[6:7], v[6:7], v[26:27]
	v_mul_f64_e32 v[26:27], s[2:3], v[170:171]
	v_add_f64_e32 v[30:31], v[178:179], v[30:31]
	v_mul_f64_e32 v[24:25], s[2:3], v[164:165]
	v_add_f64_e32 v[8:9], v[50:51], v[8:9]
	v_add_f64_e32 v[2:3], v[34:35], v[2:3]
	;; [unrolled: 1-line block ×4, first 2 shown]
	v_add_f64_e64 v[16:17], v[16:17], -v[162:163]
	v_add_f64_e32 v[18:19], v[168:169], v[18:19]
	v_add_f64_e64 v[28:29], v[28:29], -v[174:175]
	v_add_f64_e32 v[4:5], v[4:5], v[20:21]
	v_add_f64_e32 v[6:7], v[6:7], v[22:23]
	;; [unrolled: 1-line block ×3, first 2 shown]
	v_add_f64_e64 v[22:23], v[24:25], -v[172:173]
	v_add_f64_e32 v[8:9], v[30:31], v[8:9]
	v_add_f64_e32 v[14:15], v[14:15], v[2:3]
	;; [unrolled: 1-line block ×11, first 2 shown]
	scratch_load_b128 v[13:16], off, off offset:72 ; 16-byte Folded Reload
	v_mul_u32_u24_e32 v12, 11, v104
	v_add_f64_e32 v[10:11], v[24:25], v[42:43]
	s_delay_alu instid0(VALU_DEP_2)
	v_lshlrev_b32_e32 v12, 4, v12
	s_wait_loadcnt 0x0
	ds_store_b128 v12, v[13:16] offset:64
	scratch_load_b128 v[13:16], off, off offset:120 ; 16-byte Folded Reload
	s_wait_loadcnt 0x0
	ds_store_b128 v12, v[13:16] offset:80
	scratch_load_b128 v[13:16], off, off offset:104 ; 16-byte Folded Reload
	;; [unrolled: 3-line block ×5, first 2 shown]
	s_wait_loadcnt 0x0
	ds_store_b128 v12, v[13:16] offset:144
	ds_store_b128 v12, v[0:3] offset:32
	scratch_load_b128 v[0:3], off, off offset:56 ; 16-byte Folded Reload
	s_wait_loadcnt 0x0
	ds_store_b128 v12, v[0:3] offset:48
	ds_store_b128 v12, v[8:11]
	ds_store_b128 v12, v[4:7] offset:16
	scratch_load_b128 v[0:3], off, off offset:8 ; 16-byte Folded Reload
	s_wait_loadcnt 0x0
	ds_store_b128 v12, v[0:3] offset:160
.LBB0_7:
	s_wait_alu 0xfffe
	s_or_b32 exec_lo, exec_lo, s20
	v_add_co_u32 v105, null, 0xdc, v237
	global_wb scope:SCOPE_SE
	s_wait_storecnt_dscnt 0x0
	s_barrier_signal -1
	s_barrier_wait -1
	v_and_b32_e32 v107, 0xffff, v105
	global_inv scope:SCOPE_SE
	v_and_b32_e32 v1, 0xff, v237
	v_and_b32_e32 v88, 0xff, v104
	v_add_co_u32 v106, null, 0xa5, v237
	v_mul_u32_u24_e32 v0, 0xba2f, v107
	s_delay_alu instid0(VALU_DEP_4) | instskip(SKIP_1) | instid1(VALU_DEP_3)
	v_mul_lo_u16 v1, 0x75, v1
	s_mov_b32 s14, 0x134454ff
	v_and_b32_e32 v108, 0xff, v106
	s_mov_b32 s15, 0x3fee6f0e
	v_lshrrev_b32_e32 v89, 19, v0
	v_lshrrev_b16 v1, 8, v1
	s_mov_b32 s17, 0xbfee6f0e
	s_wait_alu 0xfffe
	s_mov_b32 s16, s14
	s_mov_b32 s2, 0x4755a5e
	v_mul_lo_u16 v0, v89, 11
	v_sub_nc_u16 v2, v237, v1
	s_mov_b32 s3, 0x3fe2cf23
	s_mov_b32 s9, 0xbfe2cf23
	s_wait_alu 0xfffe
	s_mov_b32 s8, s2
	v_sub_nc_u16 v90, v105, v0
	v_lshrrev_b16 v2, 1, v2
	s_mov_b32 s18, 0x372fe950
	s_mov_b32 s19, 0x3fd3c6ef
	s_delay_alu instid0(VALU_DEP_2) | instskip(NEXT) | instid1(VALU_DEP_1)
	v_lshlrev_b16 v0, 2, v90
	v_and_b32_e32 v0, 0xffff, v0
	s_delay_alu instid0(VALU_DEP_1)
	v_lshlrev_b32_e32 v0, 4, v0
	s_clause 0x3
	global_load_b128 v[37:40], v0, s[0:1]
	global_load_b128 v[33:36], v0, s[0:1] offset:16
	global_load_b128 v[29:32], v0, s[0:1] offset:32
	;; [unrolled: 1-line block ×3, first 2 shown]
	v_and_b32_e32 v0, 0x7f, v2
	s_delay_alu instid0(VALU_DEP_1) | instskip(NEXT) | instid1(VALU_DEP_1)
	v_add_nc_u16 v0, v0, v1
	v_lshrrev_b16 v91, 3, v0
	s_delay_alu instid0(VALU_DEP_1) | instskip(NEXT) | instid1(VALU_DEP_1)
	v_mul_lo_u16 v0, v91, 11
	v_sub_nc_u16 v0, v237, v0
	s_delay_alu instid0(VALU_DEP_1) | instskip(NEXT) | instid1(VALU_DEP_1)
	v_and_b32_e32 v92, 0xff, v0
	v_lshlrev_b32_e32 v24, 6, v92
	s_clause 0x1
	global_load_b128 v[45:48], v24, s[0:1]
	global_load_b128 v[41:44], v24, s[0:1] offset:16
	ds_load_b128 v[0:3], v196 offset:7920
	ds_load_b128 v[4:7], v196 offset:12320
	;; [unrolled: 1-line block ×4, first 2 shown]
	s_wait_loadcnt_dscnt 0x503
	v_mul_f64_e32 v[8:9], v[2:3], v[39:40]
	v_mul_f64_e32 v[10:11], v[0:1], v[39:40]
	s_wait_loadcnt_dscnt 0x402
	v_mul_f64_e32 v[20:21], v[6:7], v[35:36]
	v_mul_f64_e32 v[22:23], v[4:5], v[35:36]
	s_wait_loadcnt 0x3
	scratch_store_b128 off, v[29:32], off offset:516 ; 16-byte Folded Spill
	s_wait_loadcnt 0x2
	s_clause 0x2
	scratch_store_b128 off, v[25:28], off offset:500
	scratch_store_b128 off, v[37:40], off offset:548
	;; [unrolled: 1-line block ×3, first 2 shown]
	s_wait_loadcnt 0x1
	scratch_store_b128 off, v[45:48], off offset:580 ; 16-byte Folded Spill
	s_wait_loadcnt 0x0
	scratch_store_b128 off, v[41:44], off offset:564 ; 16-byte Folded Spill
	v_fma_f64 v[84:85], v[0:1], v[37:38], -v[8:9]
	v_fma_f64 v[8:9], v[2:3], v[37:38], v[10:11]
	s_wait_dscnt 0x1
	v_mul_f64_e32 v[0:1], v[14:15], v[31:32]
	v_mul_f64_e32 v[2:3], v[12:13], v[31:32]
	v_fma_f64 v[86:87], v[4:5], v[33:34], -v[20:21]
	v_fma_f64 v[10:11], v[6:7], v[33:34], v[22:23]
	s_delay_alu instid0(VALU_DEP_4) | instskip(NEXT) | instid1(VALU_DEP_4)
	v_fma_f64 v[78:79], v[12:13], v[29:30], -v[0:1]
	v_fma_f64 v[76:77], v[14:15], v[29:30], v[2:3]
	global_load_b128 v[12:15], v24, s[0:1] offset:32
	ds_load_b128 v[0:3], v196 offset:4400
	s_wait_dscnt 0x1
	v_mul_f64_e32 v[4:5], v[18:19], v[27:28]
	v_mul_f64_e32 v[6:7], v[16:17], v[27:28]
	v_add_f64_e64 v[119:120], v[86:87], -v[78:79]
	v_add_f64_e64 v[115:116], v[10:11], -v[76:77]
	s_delay_alu instid0(VALU_DEP_4) | instskip(NEXT) | instid1(VALU_DEP_4)
	v_fma_f64 v[82:83], v[16:17], v[25:26], -v[4:5]
	v_fma_f64 v[80:81], v[18:19], v[25:26], v[6:7]
	s_wait_dscnt 0x0
	v_mul_f64_e32 v[4:5], v[2:3], v[47:48]
	v_mul_f64_e32 v[6:7], v[0:1], v[47:48]
	s_delay_alu instid0(VALU_DEP_4) | instskip(NEXT) | instid1(VALU_DEP_4)
	v_add_f64_e64 v[117:118], v[84:85], -v[82:83]
	v_add_f64_e64 v[113:114], v[8:9], -v[80:81]
	s_delay_alu instid0(VALU_DEP_4) | instskip(NEXT) | instid1(VALU_DEP_4)
	v_fma_f64 v[62:63], v[0:1], v[45:46], -v[4:5]
	v_fma_f64 v[60:61], v[2:3], v[45:46], v[6:7]
	ds_load_b128 v[0:3], v196 offset:8800
	s_wait_dscnt 0x0
	v_mul_f64_e32 v[4:5], v[2:3], v[43:44]
	s_delay_alu instid0(VALU_DEP_1) | instskip(SKIP_1) | instid1(VALU_DEP_2)
	v_fma_f64 v[64:65], v[0:1], v[41:42], -v[4:5]
	v_mul_f64_e32 v[0:1], v[0:1], v[43:44]
	v_add_f64_e64 v[125:126], v[64:65], -v[62:63]
	s_delay_alu instid0(VALU_DEP_2)
	v_fma_f64 v[66:67], v[2:3], v[41:42], v[0:1]
	ds_load_b128 v[0:3], v196 offset:13200
	s_wait_loadcnt_dscnt 0x0
	v_mul_f64_e32 v[4:5], v[2:3], v[14:15]
	scratch_store_b128 off, v[12:15], off offset:612 ; 16-byte Folded Spill
	v_fma_f64 v[70:71], v[0:1], v[12:13], -v[4:5]
	v_mul_f64_e32 v[0:1], v[0:1], v[14:15]
	s_delay_alu instid0(VALU_DEP_2) | instskip(NEXT) | instid1(VALU_DEP_2)
	v_add_f64_e64 v[123:124], v[64:65], -v[70:71]
	v_fma_f64 v[68:69], v[2:3], v[12:13], v[0:1]
	global_load_b128 v[12:15], v24, s[0:1] offset:48
	ds_load_b128 v[0:3], v196 offset:17600
	s_wait_loadcnt_dscnt 0x0
	v_mul_f64_e32 v[4:5], v[2:3], v[14:15]
	scratch_store_b128 off, v[12:15], off offset:596 ; 16-byte Folded Spill
	v_fma_f64 v[72:73], v[0:1], v[12:13], -v[4:5]
	v_mul_f64_e32 v[0:1], v[0:1], v[14:15]
	s_delay_alu instid0(VALU_DEP_2) | instskip(NEXT) | instid1(VALU_DEP_2)
	v_add_f64_e64 v[121:122], v[62:63], -v[72:73]
	v_fma_f64 v[74:75], v[2:3], v[12:13], v[0:1]
	v_and_b32_e32 v0, 0xff, v192
	s_delay_alu instid0(VALU_DEP_1) | instskip(NEXT) | instid1(VALU_DEP_1)
	v_mul_lo_u16 v0, 0x75, v0
	v_lshrrev_b16 v0, 8, v0
	s_delay_alu instid0(VALU_DEP_1) | instskip(NEXT) | instid1(VALU_DEP_1)
	v_sub_nc_u16 v1, v192, v0
	v_lshrrev_b16 v1, 1, v1
	s_delay_alu instid0(VALU_DEP_1) | instskip(NEXT) | instid1(VALU_DEP_1)
	v_and_b32_e32 v1, 0x7f, v1
	v_add_nc_u16 v0, v1, v0
	s_delay_alu instid0(VALU_DEP_1) | instskip(NEXT) | instid1(VALU_DEP_1)
	v_lshrrev_b16 v93, 3, v0
	v_mul_lo_u16 v0, v93, 11
	s_delay_alu instid0(VALU_DEP_1) | instskip(NEXT) | instid1(VALU_DEP_1)
	v_sub_nc_u16 v0, v192, v0
	v_and_b32_e32 v94, 0xff, v0
	ds_load_b128 v[0:3], v196 offset:5280
	v_lshlrev_b32_e32 v6, 6, v94
	global_load_b128 v[12:15], v6, s[0:1]
	s_wait_loadcnt_dscnt 0x0
	v_mul_f64_e32 v[4:5], v[2:3], v[14:15]
	scratch_store_b128 off, v[12:15], off offset:628 ; 16-byte Folded Spill
	v_fma_f64 v[46:47], v[0:1], v[12:13], -v[4:5]
	v_mul_f64_e32 v[0:1], v[0:1], v[14:15]
	s_delay_alu instid0(VALU_DEP_1)
	v_fma_f64 v[44:45], v[2:3], v[12:13], v[0:1]
	global_load_b128 v[12:15], v6, s[0:1] offset:16
	ds_load_b128 v[0:3], v196 offset:9680
	s_wait_loadcnt_dscnt 0x0
	v_mul_f64_e32 v[4:5], v[2:3], v[14:15]
	scratch_store_b128 off, v[12:15], off offset:660 ; 16-byte Folded Spill
	v_fma_f64 v[48:49], v[0:1], v[12:13], -v[4:5]
	v_mul_f64_e32 v[0:1], v[0:1], v[14:15]
	s_delay_alu instid0(VALU_DEP_2) | instskip(NEXT) | instid1(VALU_DEP_2)
	v_add_f64_e64 v[129:130], v[48:49], -v[46:47]
	v_fma_f64 v[50:51], v[2:3], v[12:13], v[0:1]
	global_load_b128 v[12:15], v6, s[0:1] offset:32
	ds_load_b128 v[0:3], v196 offset:14080
	s_wait_loadcnt_dscnt 0x0
	v_mul_f64_e32 v[4:5], v[2:3], v[14:15]
	scratch_store_b128 off, v[12:15], off offset:644 ; 16-byte Folded Spill
	v_fma_f64 v[54:55], v[0:1], v[12:13], -v[4:5]
	v_mul_f64_e32 v[0:1], v[0:1], v[14:15]
	s_delay_alu instid0(VALU_DEP_2) | instskip(NEXT) | instid1(VALU_DEP_2)
	v_add_f64_e64 v[127:128], v[48:49], -v[54:55]
	v_fma_f64 v[52:53], v[2:3], v[12:13], v[0:1]
	global_load_b128 v[12:15], v6, s[0:1] offset:48
	ds_load_b128 v[0:3], v196 offset:18480
	s_wait_loadcnt_dscnt 0x0
	v_mul_f64_e32 v[4:5], v[2:3], v[14:15]
	scratch_store_b128 off, v[12:15], off offset:676 ; 16-byte Folded Spill
	v_fma_f64 v[56:57], v[0:1], v[12:13], -v[4:5]
	v_mul_f64_e32 v[0:1], v[0:1], v[14:15]
	s_delay_alu instid0(VALU_DEP_1) | instskip(SKIP_1) | instid1(VALU_DEP_1)
	v_fma_f64 v[58:59], v[2:3], v[12:13], v[0:1]
	v_mul_lo_u16 v0, 0x75, v88
	v_lshrrev_b16 v0, 8, v0
	s_delay_alu instid0(VALU_DEP_1) | instskip(NEXT) | instid1(VALU_DEP_1)
	v_sub_nc_u16 v1, v104, v0
	v_lshrrev_b16 v1, 1, v1
	s_delay_alu instid0(VALU_DEP_1) | instskip(NEXT) | instid1(VALU_DEP_1)
	v_and_b32_e32 v1, 0x7f, v1
	v_add_nc_u16 v0, v1, v0
	s_delay_alu instid0(VALU_DEP_1) | instskip(NEXT) | instid1(VALU_DEP_1)
	v_lshrrev_b16 v95, 3, v0
	v_mul_lo_u16 v0, v95, 11
	s_delay_alu instid0(VALU_DEP_1) | instskip(NEXT) | instid1(VALU_DEP_1)
	v_sub_nc_u16 v0, v104, v0
	v_and_b32_e32 v96, 0xff, v0
	ds_load_b128 v[0:3], v196 offset:6160
	v_lshlrev_b32_e32 v6, 6, v96
	global_load_b128 v[12:15], v6, s[0:1]
	s_wait_loadcnt_dscnt 0x0
	v_mul_f64_e32 v[4:5], v[2:3], v[14:15]
	scratch_store_b128 off, v[12:15], off offset:708 ; 16-byte Folded Spill
	v_fma_f64 v[30:31], v[0:1], v[12:13], -v[4:5]
	v_mul_f64_e32 v[0:1], v[0:1], v[14:15]
	s_delay_alu instid0(VALU_DEP_1)
	v_fma_f64 v[28:29], v[2:3], v[12:13], v[0:1]
	global_load_b128 v[12:15], v6, s[0:1] offset:16
	ds_load_b128 v[0:3], v196 offset:10560
	s_wait_loadcnt_dscnt 0x0
	v_mul_f64_e32 v[4:5], v[2:3], v[14:15]
	scratch_store_b128 off, v[12:15], off offset:692 ; 16-byte Folded Spill
	v_fma_f64 v[32:33], v[0:1], v[12:13], -v[4:5]
	v_mul_f64_e32 v[0:1], v[0:1], v[14:15]
	s_delay_alu instid0(VALU_DEP_2) | instskip(NEXT) | instid1(VALU_DEP_2)
	v_add_f64_e64 v[133:134], v[32:33], -v[30:31]
	v_fma_f64 v[34:35], v[2:3], v[12:13], v[0:1]
	global_load_b128 v[12:15], v6, s[0:1] offset:32
	ds_load_b128 v[0:3], v196 offset:14960
	s_wait_loadcnt_dscnt 0x0
	v_mul_f64_e32 v[4:5], v[2:3], v[14:15]
	scratch_store_b128 off, v[12:15], off offset:740 ; 16-byte Folded Spill
	v_fma_f64 v[38:39], v[0:1], v[12:13], -v[4:5]
	v_mul_f64_e32 v[0:1], v[0:1], v[14:15]
	s_delay_alu instid0(VALU_DEP_2) | instskip(NEXT) | instid1(VALU_DEP_2)
	v_add_f64_e64 v[131:132], v[32:33], -v[38:39]
	v_fma_f64 v[36:37], v[2:3], v[12:13], v[0:1]
	global_load_b128 v[12:15], v6, s[0:1] offset:48
	ds_load_b128 v[0:3], v196 offset:19360
	s_wait_loadcnt_dscnt 0x0
	v_mul_f64_e32 v[4:5], v[2:3], v[14:15]
	s_delay_alu instid0(VALU_DEP_1) | instskip(SKIP_1) | instid1(VALU_DEP_1)
	v_fma_f64 v[40:41], v[0:1], v[12:13], -v[4:5]
	v_mul_f64_e32 v[0:1], v[0:1], v[14:15]
	v_fma_f64 v[42:43], v[2:3], v[12:13], v[0:1]
	v_mul_lo_u16 v0, 0x75, v108
	s_delay_alu instid0(VALU_DEP_1) | instskip(NEXT) | instid1(VALU_DEP_1)
	v_lshrrev_b16 v0, 8, v0
	v_sub_nc_u16 v1, v106, v0
	s_delay_alu instid0(VALU_DEP_1) | instskip(NEXT) | instid1(VALU_DEP_1)
	v_lshrrev_b16 v1, 1, v1
	v_and_b32_e32 v1, 0x7f, v1
	s_delay_alu instid0(VALU_DEP_1) | instskip(NEXT) | instid1(VALU_DEP_1)
	v_add_nc_u16 v0, v1, v0
	v_lshrrev_b16 v97, 3, v0
	s_delay_alu instid0(VALU_DEP_1) | instskip(NEXT) | instid1(VALU_DEP_1)
	v_mul_lo_u16 v0, v97, 11
	v_sub_nc_u16 v0, v106, v0
	s_delay_alu instid0(VALU_DEP_1)
	v_and_b32_e32 v98, 0xff, v0
	ds_load_b128 v[0:3], v196 offset:7040
	v_lshlrev_b32_e32 v6, 6, v98
	s_clause 0x1
	global_load_b128 v[16:19], v6, s[0:1]
	global_load_b128 v[24:27], v6, s[0:1] offset:32
	scratch_store_b128 off, v[12:15], off offset:724 ; 16-byte Folded Spill
	global_load_b128 v[99:102], v6, s[0:1] offset:48
	s_wait_loadcnt 0x2
	scratch_store_b128 off, v[16:19], off offset:756 ; 16-byte Folded Spill
	s_wait_dscnt 0x0
	v_mul_f64_e32 v[4:5], v[2:3], v[18:19]
	s_wait_loadcnt 0x1
	scratch_store_b128 off, v[24:27], off offset:772 ; 16-byte Folded Spill
	s_wait_loadcnt 0x0
	scratch_store_b128 off, v[99:102], off offset:804 ; 16-byte Folded Spill
	v_fma_f64 v[14:15], v[0:1], v[16:17], -v[4:5]
	v_mul_f64_e32 v[0:1], v[0:1], v[18:19]
	global_load_b128 v[18:21], v6, s[0:1] offset:16
	v_fma_f64 v[12:13], v[2:3], v[16:17], v[0:1]
	ds_load_b128 v[0:3], v196 offset:11440
	s_wait_loadcnt_dscnt 0x0
	v_mul_f64_e32 v[4:5], v[2:3], v[20:21]
	scratch_store_b128 off, v[18:21], off offset:788 ; 16-byte Folded Spill
	v_fma_f64 v[16:17], v[0:1], v[18:19], -v[4:5]
	v_mul_f64_e32 v[0:1], v[0:1], v[20:21]
	s_delay_alu instid0(VALU_DEP_1) | instskip(SKIP_3) | instid1(VALU_DEP_1)
	v_fma_f64 v[18:19], v[2:3], v[18:19], v[0:1]
	ds_load_b128 v[0:3], v196 offset:15840
	s_wait_dscnt 0x0
	v_mul_f64_e32 v[4:5], v[2:3], v[26:27]
	v_fma_f64 v[22:23], v[0:1], v[24:25], -v[4:5]
	v_mul_f64_e32 v[0:1], v[0:1], v[26:27]
	s_delay_alu instid0(VALU_DEP_1) | instskip(SKIP_3) | instid1(VALU_DEP_1)
	v_fma_f64 v[20:21], v[2:3], v[24:25], v[0:1]
	ds_load_b128 v[0:3], v196 offset:20240
	s_wait_dscnt 0x0
	v_mul_f64_e32 v[4:5], v[2:3], v[101:102]
	v_fma_f64 v[24:25], v[0:1], v[99:100], -v[4:5]
	v_mul_f64_e32 v[0:1], v[0:1], v[101:102]
	s_delay_alu instid0(VALU_DEP_1)
	v_fma_f64 v[26:27], v[2:3], v[99:100], v[0:1]
	v_add_f64_e64 v[0:1], v[84:85], -v[86:87]
	v_add_f64_e64 v[2:3], v[82:83], -v[78:79]
	ds_load_b128 v[99:102], v196 offset:3520
	v_add_f64_e32 v[4:5], v[0:1], v[2:3]
	v_add_f64_e64 v[0:1], v[8:9], -v[10:11]
	v_add_f64_e64 v[2:3], v[80:81], -v[76:77]
	s_delay_alu instid0(VALU_DEP_1) | instskip(SKIP_2) | instid1(VALU_DEP_1)
	v_add_f64_e32 v[6:7], v[0:1], v[2:3]
	v_add_f64_e32 v[0:1], v[86:87], v[78:79]
	s_wait_dscnt 0x0
	v_fma_f64 v[109:110], v[0:1], -0.5, v[99:100]
	v_add_f64_e32 v[0:1], v[10:11], v[76:77]
	s_delay_alu instid0(VALU_DEP_1) | instskip(NEXT) | instid1(VALU_DEP_3)
	v_fma_f64 v[111:112], v[0:1], -0.5, v[101:102]
	v_fma_f64 v[0:1], v[113:114], s[14:15], v[109:110]
	v_fma_f64 v[109:110], v[113:114], s[16:17], v[109:110]
	s_delay_alu instid0(VALU_DEP_3) | instskip(SKIP_1) | instid1(VALU_DEP_4)
	v_fma_f64 v[2:3], v[117:118], s[16:17], v[111:112]
	v_fma_f64 v[111:112], v[117:118], s[14:15], v[111:112]
	v_fma_f64 v[0:1], v[115:116], s[2:3], v[0:1]
	s_wait_alu 0xfffe
	s_delay_alu instid0(VALU_DEP_4) | instskip(NEXT) | instid1(VALU_DEP_4)
	v_fma_f64 v[109:110], v[115:116], s[8:9], v[109:110]
	v_fma_f64 v[2:3], v[119:120], s[8:9], v[2:3]
	s_delay_alu instid0(VALU_DEP_4) | instskip(NEXT) | instid1(VALU_DEP_4)
	v_fma_f64 v[111:112], v[119:120], s[2:3], v[111:112]
	v_fma_f64 v[0:1], v[4:5], s[18:19], v[0:1]
	s_delay_alu instid0(VALU_DEP_4) | instskip(SKIP_4) | instid1(VALU_DEP_4)
	v_fma_f64 v[4:5], v[4:5], s[18:19], v[109:110]
	v_add_f64_e32 v[109:110], v[84:85], v[82:83]
	v_fma_f64 v[2:3], v[6:7], s[18:19], v[2:3]
	v_fma_f64 v[6:7], v[6:7], s[18:19], v[111:112]
	v_add_f64_e32 v[111:112], v[8:9], v[80:81]
	v_fma_f64 v[109:110], v[109:110], -0.5, v[99:100]
	v_add_f64_e32 v[99:100], v[99:100], v[84:85]
	v_add_f64_e64 v[84:85], v[86:87], -v[84:85]
	s_delay_alu instid0(VALU_DEP_4) | instskip(SKIP_1) | instid1(VALU_DEP_4)
	v_fma_f64 v[111:112], v[111:112], -0.5, v[101:102]
	v_add_f64_e32 v[101:102], v[101:102], v[8:9]
	v_add_f64_e32 v[86:87], v[99:100], v[86:87]
	s_delay_alu instid0(VALU_DEP_2) | instskip(SKIP_1) | instid1(VALU_DEP_3)
	v_add_f64_e32 v[99:100], v[101:102], v[10:11]
	v_add_f64_e64 v[101:102], v[10:11], -v[8:9]
	v_add_f64_e32 v[8:9], v[86:87], v[78:79]
	v_add_f64_e64 v[78:79], v[78:79], -v[82:83]
	v_fma_f64 v[86:87], v[119:120], s[14:15], v[111:112]
	v_add_f64_e32 v[10:11], v[99:100], v[76:77]
	v_add_f64_e64 v[76:77], v[76:77], -v[80:81]
	v_add_f64_e32 v[8:9], v[8:9], v[82:83]
	v_fma_f64 v[82:83], v[115:116], s[14:15], v[109:110]
	v_add_f64_e32 v[84:85], v[84:85], v[78:79]
	v_fma_f64 v[78:79], v[117:118], s[8:9], v[86:87]
	v_add_f64_e64 v[86:87], v[72:73], -v[70:71]
	v_fma_f64 v[99:100], v[119:120], s[16:17], v[111:112]
	v_add_f64_e64 v[119:120], v[66:67], -v[68:69]
	v_add_f64_e32 v[10:11], v[10:11], v[80:81]
	v_fma_f64 v[80:81], v[115:116], s[16:17], v[109:110]
	v_add_f64_e32 v[101:102], v[101:102], v[76:77]
	s_delay_alu instid0(VALU_DEP_2)
	v_fma_f64 v[76:77], v[113:114], s[2:3], v[80:81]
	v_fma_f64 v[80:81], v[113:114], s[8:9], v[82:83]
	;; [unrolled: 1-line block ×3, first 2 shown]
	v_add_f64_e32 v[99:100], v[64:65], v[70:71]
	v_add_f64_e64 v[117:118], v[60:61], -v[74:75]
	v_fma_f64 v[78:79], v[101:102], s[18:19], v[78:79]
	v_fma_f64 v[76:77], v[84:85], s[18:19], v[76:77]
	;; [unrolled: 1-line block ×3, first 2 shown]
	v_add_f64_e64 v[84:85], v[62:63], -v[64:65]
	v_fma_f64 v[82:83], v[101:102], s[18:19], v[82:83]
	s_delay_alu instid0(VALU_DEP_2) | instskip(SKIP_2) | instid1(VALU_DEP_1)
	v_add_f64_e32 v[109:110], v[84:85], v[86:87]
	v_add_f64_e64 v[84:85], v[60:61], -v[66:67]
	v_add_f64_e64 v[86:87], v[74:75], -v[68:69]
	v_add_f64_e32 v[111:112], v[84:85], v[86:87]
	ds_load_b128 v[84:87], v196
	s_wait_dscnt 0x0
	v_fma_f64 v[113:114], v[99:100], -0.5, v[84:85]
	v_add_f64_e32 v[99:100], v[66:67], v[68:69]
	s_delay_alu instid0(VALU_DEP_1) | instskip(NEXT) | instid1(VALU_DEP_3)
	v_fma_f64 v[115:116], v[99:100], -0.5, v[86:87]
	v_fma_f64 v[99:100], v[117:118], s[14:15], v[113:114]
	v_fma_f64 v[113:114], v[117:118], s[16:17], v[113:114]
	s_delay_alu instid0(VALU_DEP_3) | instskip(SKIP_1) | instid1(VALU_DEP_4)
	v_fma_f64 v[101:102], v[121:122], s[16:17], v[115:116]
	v_fma_f64 v[115:116], v[121:122], s[14:15], v[115:116]
	;; [unrolled: 1-line block ×3, first 2 shown]
	s_delay_alu instid0(VALU_DEP_4) | instskip(NEXT) | instid1(VALU_DEP_4)
	v_fma_f64 v[113:114], v[119:120], s[8:9], v[113:114]
	v_fma_f64 v[101:102], v[123:124], s[8:9], v[101:102]
	s_delay_alu instid0(VALU_DEP_4) | instskip(NEXT) | instid1(VALU_DEP_4)
	v_fma_f64 v[115:116], v[123:124], s[2:3], v[115:116]
	v_fma_f64 v[99:100], v[109:110], s[18:19], v[99:100]
	s_delay_alu instid0(VALU_DEP_4) | instskip(SKIP_4) | instid1(VALU_DEP_4)
	v_fma_f64 v[109:110], v[109:110], s[18:19], v[113:114]
	v_add_f64_e32 v[113:114], v[62:63], v[72:73]
	v_fma_f64 v[101:102], v[111:112], s[18:19], v[101:102]
	v_fma_f64 v[111:112], v[111:112], s[18:19], v[115:116]
	v_add_f64_e32 v[115:116], v[60:61], v[74:75]
	v_fma_f64 v[113:114], v[113:114], -0.5, v[84:85]
	v_add_f64_e32 v[84:85], v[84:85], v[62:63]
	s_delay_alu instid0(VALU_DEP_3) | instskip(SKIP_1) | instid1(VALU_DEP_3)
	v_fma_f64 v[115:116], v[115:116], -0.5, v[86:87]
	v_add_f64_e32 v[86:87], v[86:87], v[60:61]
	v_add_f64_e32 v[62:63], v[84:85], v[64:65]
	s_delay_alu instid0(VALU_DEP_3) | instskip(NEXT) | instid1(VALU_DEP_3)
	v_fma_f64 v[84:85], v[123:124], s[16:17], v[115:116]
	v_add_f64_e32 v[64:65], v[86:87], v[66:67]
	v_add_f64_e64 v[66:67], v[66:67], -v[60:61]
	s_delay_alu instid0(VALU_DEP_4) | instskip(NEXT) | instid1(VALU_DEP_3)
	v_add_f64_e32 v[60:61], v[62:63], v[70:71]
	v_add_f64_e32 v[62:63], v[64:65], v[68:69]
	v_add_f64_e64 v[64:65], v[70:71], -v[72:73]
	s_delay_alu instid0(VALU_DEP_3)
	v_add_f64_e32 v[60:61], v[60:61], v[72:73]
	v_add_f64_e64 v[68:69], v[68:69], -v[74:75]
	v_fma_f64 v[70:71], v[119:120], s[16:17], v[113:114]
	v_fma_f64 v[72:73], v[119:120], s[14:15], v[113:114]
	v_add_f64_e32 v[62:63], v[62:63], v[74:75]
	v_fma_f64 v[74:75], v[123:124], s[14:15], v[115:116]
	v_add_f64_e32 v[86:87], v[125:126], v[64:65]
	v_add_f64_e32 v[113:114], v[66:67], v[68:69]
	v_fma_f64 v[64:65], v[117:118], s[2:3], v[70:71]
	v_fma_f64 v[68:69], v[117:118], s[8:9], v[72:73]
	;; [unrolled: 1-line block ×3, first 2 shown]
	v_add_f64_e64 v[72:73], v[46:47], -v[48:49]
	v_add_f64_e32 v[84:85], v[48:49], v[54:55]
	v_add_f64_e64 v[125:126], v[46:47], -v[56:57]
	v_add_f64_e64 v[123:124], v[50:51], -v[52:53]
	v_fma_f64 v[66:67], v[121:122], s[8:9], v[74:75]
	v_add_f64_e64 v[74:75], v[56:57], -v[54:55]
	v_add_f64_e64 v[121:122], v[44:45], -v[58:59]
	v_fma_f64 v[64:65], v[86:87], s[18:19], v[64:65]
	v_fma_f64 v[68:69], v[86:87], s[18:19], v[68:69]
	;; [unrolled: 1-line block ×4, first 2 shown]
	v_add_f64_e32 v[113:114], v[72:73], v[74:75]
	v_add_f64_e64 v[72:73], v[44:45], -v[50:51]
	v_add_f64_e64 v[74:75], v[58:59], -v[52:53]
	s_delay_alu instid0(VALU_DEP_1) | instskip(SKIP_4) | instid1(VALU_DEP_1)
	v_add_f64_e32 v[115:116], v[72:73], v[74:75]
	ds_load_b128 v[72:75], v196 offset:880
	s_wait_dscnt 0x0
	v_fma_f64 v[117:118], v[84:85], -0.5, v[72:73]
	v_add_f64_e32 v[84:85], v[50:51], v[52:53]
	v_fma_f64 v[119:120], v[84:85], -0.5, v[74:75]
	s_delay_alu instid0(VALU_DEP_3) | instskip(SKIP_1) | instid1(VALU_DEP_3)
	v_fma_f64 v[84:85], v[121:122], s[14:15], v[117:118]
	v_fma_f64 v[117:118], v[121:122], s[16:17], v[117:118]
	v_fma_f64 v[86:87], v[125:126], s[16:17], v[119:120]
	v_fma_f64 v[119:120], v[125:126], s[14:15], v[119:120]
	s_delay_alu instid0(VALU_DEP_4) | instskip(NEXT) | instid1(VALU_DEP_4)
	v_fma_f64 v[84:85], v[123:124], s[2:3], v[84:85]
	v_fma_f64 v[117:118], v[123:124], s[8:9], v[117:118]
	s_delay_alu instid0(VALU_DEP_4) | instskip(NEXT) | instid1(VALU_DEP_4)
	v_fma_f64 v[86:87], v[127:128], s[8:9], v[86:87]
	v_fma_f64 v[119:120], v[127:128], s[2:3], v[119:120]
	;; [unrolled: 3-line block ×3, first 2 shown]
	v_add_f64_e32 v[117:118], v[46:47], v[56:57]
	v_fma_f64 v[86:87], v[115:116], s[18:19], v[86:87]
	v_fma_f64 v[115:116], v[115:116], s[18:19], v[119:120]
	v_add_f64_e32 v[119:120], v[44:45], v[58:59]
	s_delay_alu instid0(VALU_DEP_4) | instskip(SKIP_1) | instid1(VALU_DEP_3)
	v_fma_f64 v[117:118], v[117:118], -0.5, v[72:73]
	v_add_f64_e32 v[72:73], v[72:73], v[46:47]
	v_fma_f64 v[119:120], v[119:120], -0.5, v[74:75]
	v_add_f64_e32 v[74:75], v[74:75], v[44:45]
	s_delay_alu instid0(VALU_DEP_3) | instskip(NEXT) | instid1(VALU_DEP_3)
	v_add_f64_e32 v[46:47], v[72:73], v[48:49]
	v_fma_f64 v[72:73], v[127:128], s[16:17], v[119:120]
	s_delay_alu instid0(VALU_DEP_3) | instskip(SKIP_1) | instid1(VALU_DEP_4)
	v_add_f64_e32 v[48:49], v[74:75], v[50:51]
	v_add_f64_e64 v[50:51], v[50:51], -v[44:45]
	v_add_f64_e32 v[44:45], v[46:47], v[54:55]
	s_delay_alu instid0(VALU_DEP_3) | instskip(SKIP_1) | instid1(VALU_DEP_3)
	v_add_f64_e32 v[46:47], v[48:49], v[52:53]
	v_add_f64_e64 v[48:49], v[54:55], -v[56:57]
	v_add_f64_e32 v[44:45], v[44:45], v[56:57]
	v_add_f64_e64 v[52:53], v[52:53], -v[58:59]
	v_fma_f64 v[54:55], v[123:124], s[16:17], v[117:118]
	v_fma_f64 v[56:57], v[123:124], s[14:15], v[117:118]
	v_add_f64_e32 v[46:47], v[46:47], v[58:59]
	v_fma_f64 v[58:59], v[127:128], s[14:15], v[119:120]
	v_add_f64_e32 v[74:75], v[129:130], v[48:49]
	v_add_f64_e32 v[117:118], v[50:51], v[52:53]
	v_fma_f64 v[48:49], v[121:122], s[2:3], v[54:55]
	v_fma_f64 v[52:53], v[121:122], s[8:9], v[56:57]
	;; [unrolled: 1-line block ×3, first 2 shown]
	v_add_f64_e64 v[56:57], v[30:31], -v[32:33]
	v_add_f64_e32 v[72:73], v[32:33], v[38:39]
	v_add_f64_e64 v[127:128], v[34:35], -v[36:37]
	v_add_f64_e64 v[129:130], v[30:31], -v[40:41]
	v_fma_f64 v[50:51], v[125:126], s[8:9], v[58:59]
	v_add_f64_e64 v[58:59], v[40:41], -v[38:39]
	v_add_f64_e64 v[125:126], v[28:29], -v[42:43]
	v_fma_f64 v[48:49], v[74:75], s[18:19], v[48:49]
	v_fma_f64 v[52:53], v[74:75], s[18:19], v[52:53]
	;; [unrolled: 1-line block ×4, first 2 shown]
	v_add_f64_e32 v[117:118], v[56:57], v[58:59]
	v_add_f64_e64 v[56:57], v[28:29], -v[34:35]
	v_add_f64_e64 v[58:59], v[42:43], -v[36:37]
	s_delay_alu instid0(VALU_DEP_1) | instskip(SKIP_4) | instid1(VALU_DEP_1)
	v_add_f64_e32 v[119:120], v[56:57], v[58:59]
	ds_load_b128 v[56:59], v196 offset:1760
	s_wait_dscnt 0x0
	v_fma_f64 v[121:122], v[72:73], -0.5, v[56:57]
	v_add_f64_e32 v[72:73], v[34:35], v[36:37]
	v_fma_f64 v[123:124], v[72:73], -0.5, v[58:59]
	s_delay_alu instid0(VALU_DEP_3) | instskip(SKIP_1) | instid1(VALU_DEP_3)
	v_fma_f64 v[72:73], v[125:126], s[14:15], v[121:122]
	v_fma_f64 v[121:122], v[125:126], s[16:17], v[121:122]
	;; [unrolled: 1-line block ×3, first 2 shown]
	s_delay_alu instid0(VALU_DEP_3) | instskip(SKIP_1) | instid1(VALU_DEP_4)
	v_fma_f64 v[72:73], v[127:128], s[2:3], v[72:73]
	v_fma_f64 v[123:124], v[129:130], s[14:15], v[123:124]
	;; [unrolled: 1-line block ×3, first 2 shown]
	s_delay_alu instid0(VALU_DEP_4) | instskip(NEXT) | instid1(VALU_DEP_4)
	v_fma_f64 v[74:75], v[131:132], s[8:9], v[74:75]
	v_fma_f64 v[72:73], v[117:118], s[18:19], v[72:73]
	s_delay_alu instid0(VALU_DEP_4) | instskip(NEXT) | instid1(VALU_DEP_4)
	v_fma_f64 v[123:124], v[131:132], s[2:3], v[123:124]
	v_fma_f64 v[117:118], v[117:118], s[18:19], v[121:122]
	v_add_f64_e32 v[121:122], v[30:31], v[40:41]
	v_fma_f64 v[74:75], v[119:120], s[18:19], v[74:75]
	s_delay_alu instid0(VALU_DEP_4) | instskip(SKIP_1) | instid1(VALU_DEP_4)
	v_fma_f64 v[119:120], v[119:120], s[18:19], v[123:124]
	v_add_f64_e32 v[123:124], v[28:29], v[42:43]
	v_fma_f64 v[121:122], v[121:122], -0.5, v[56:57]
	v_add_f64_e32 v[56:57], v[56:57], v[30:31]
	s_delay_alu instid0(VALU_DEP_3) | instskip(SKIP_1) | instid1(VALU_DEP_3)
	v_fma_f64 v[123:124], v[123:124], -0.5, v[58:59]
	v_add_f64_e32 v[58:59], v[58:59], v[28:29]
	v_add_f64_e32 v[30:31], v[56:57], v[32:33]
	s_delay_alu instid0(VALU_DEP_3) | instskip(NEXT) | instid1(VALU_DEP_3)
	v_fma_f64 v[56:57], v[131:132], s[16:17], v[123:124]
	v_add_f64_e32 v[32:33], v[58:59], v[34:35]
	v_add_f64_e64 v[34:35], v[34:35], -v[28:29]
	s_delay_alu instid0(VALU_DEP_4) | instskip(NEXT) | instid1(VALU_DEP_3)
	v_add_f64_e32 v[28:29], v[30:31], v[38:39]
	v_add_f64_e32 v[30:31], v[32:33], v[36:37]
	v_add_f64_e64 v[32:33], v[38:39], -v[40:41]
	s_delay_alu instid0(VALU_DEP_3)
	v_add_f64_e32 v[28:29], v[28:29], v[40:41]
	v_add_f64_e64 v[36:37], v[36:37], -v[42:43]
	v_fma_f64 v[38:39], v[127:128], s[16:17], v[121:122]
	v_fma_f64 v[40:41], v[127:128], s[14:15], v[121:122]
	v_add_f64_e64 v[127:128], v[14:15], -v[24:25]
	v_add_f64_e32 v[30:31], v[30:31], v[42:43]
	v_add_f64_e32 v[58:59], v[133:134], v[32:33]
	v_fma_f64 v[42:43], v[131:132], s[14:15], v[123:124]
	v_add_f64_e32 v[121:122], v[34:35], v[36:37]
	v_fma_f64 v[32:33], v[125:126], s[2:3], v[38:39]
	v_fma_f64 v[36:37], v[125:126], s[8:9], v[40:41]
	v_fma_f64 v[38:39], v[129:130], s[2:3], v[56:57]
	v_add_f64_e64 v[56:57], v[14:15], -v[16:17]
	v_and_b32_e32 v40, 0xffff, v91
	v_add_f64_e64 v[123:124], v[12:13], -v[26:27]
	v_add_f64_e64 v[125:126], v[18:19], -v[20:21]
	v_add_f64_e64 v[131:132], v[16:17], -v[14:15]
	s_delay_alu instid0(VALU_DEP_4) | instskip(NEXT) | instid1(VALU_DEP_1)
	v_mul_u32_u24_e32 v40, 55, v40
	v_add_lshl_u32 v103, v40, v92, 4
	v_fma_f64 v[34:35], v[129:130], s[8:9], v[42:43]
	ds_load_b128 v[40:43], v196 offset:2640
	v_fma_f64 v[32:33], v[58:59], s[18:19], v[32:33]
	v_fma_f64 v[36:37], v[58:59], s[18:19], v[36:37]
	v_add_f64_e64 v[58:59], v[24:25], -v[22:23]
	global_wb scope:SCOPE_SE
	s_wait_storecnt_dscnt 0x0
	s_barrier_signal -1
	s_barrier_wait -1
	global_inv scope:SCOPE_SE
	ds_store_b128 v103, v[60:63]
	v_fma_f64 v[38:39], v[121:122], s[18:19], v[38:39]
	v_add_f64_e64 v[129:130], v[16:17], -v[22:23]
	ds_store_b128 v103, v[99:102] offset:176
	ds_store_b128 v103, v[64:67] offset:352
	;; [unrolled: 1-line block ×3, first 2 shown]
	scratch_store_b32 off, v103, off offset:836 ; 4-byte Folded Spill
	ds_store_b128 v103, v[109:112] offset:704
	v_fma_f64 v[34:35], v[121:122], s[18:19], v[34:35]
	v_add_f64_e32 v[60:61], v[56:57], v[58:59]
	v_add_f64_e64 v[56:57], v[12:13], -v[18:19]
	v_add_f64_e64 v[58:59], v[26:27], -v[20:21]
	s_delay_alu instid0(VALU_DEP_1) | instskip(SKIP_1) | instid1(VALU_DEP_1)
	v_add_f64_e32 v[62:63], v[56:57], v[58:59]
	v_add_f64_e32 v[56:57], v[16:17], v[22:23]
	v_fma_f64 v[91:92], v[56:57], -0.5, v[40:41]
	v_add_f64_e32 v[56:57], v[18:19], v[20:21]
	s_delay_alu instid0(VALU_DEP_1) | instskip(NEXT) | instid1(VALU_DEP_3)
	v_fma_f64 v[121:122], v[56:57], -0.5, v[42:43]
	v_fma_f64 v[56:57], v[123:124], s[14:15], v[91:92]
	v_fma_f64 v[91:92], v[123:124], s[16:17], v[91:92]
	s_delay_alu instid0(VALU_DEP_3) | instskip(SKIP_1) | instid1(VALU_DEP_4)
	v_fma_f64 v[58:59], v[127:128], s[16:17], v[121:122]
	v_fma_f64 v[121:122], v[127:128], s[14:15], v[121:122]
	;; [unrolled: 1-line block ×3, first 2 shown]
	s_delay_alu instid0(VALU_DEP_4) | instskip(NEXT) | instid1(VALU_DEP_4)
	v_fma_f64 v[91:92], v[125:126], s[8:9], v[91:92]
	v_fma_f64 v[58:59], v[129:130], s[8:9], v[58:59]
	s_delay_alu instid0(VALU_DEP_4) | instskip(NEXT) | instid1(VALU_DEP_4)
	v_fma_f64 v[121:122], v[129:130], s[2:3], v[121:122]
	v_fma_f64 v[56:57], v[60:61], s[18:19], v[56:57]
	s_delay_alu instid0(VALU_DEP_4) | instskip(SKIP_4) | instid1(VALU_DEP_4)
	v_fma_f64 v[60:61], v[60:61], s[18:19], v[91:92]
	v_add_f64_e32 v[91:92], v[14:15], v[24:25]
	v_fma_f64 v[58:59], v[62:63], s[18:19], v[58:59]
	v_fma_f64 v[62:63], v[62:63], s[18:19], v[121:122]
	v_add_f64_e32 v[121:122], v[12:13], v[26:27]
	v_fma_f64 v[91:92], v[91:92], -0.5, v[40:41]
	v_add_f64_e32 v[40:41], v[40:41], v[14:15]
	s_delay_alu instid0(VALU_DEP_3) | instskip(SKIP_1) | instid1(VALU_DEP_3)
	v_fma_f64 v[121:122], v[121:122], -0.5, v[42:43]
	v_add_f64_e32 v[42:43], v[42:43], v[12:13]
	v_add_f64_e32 v[14:15], v[40:41], v[16:17]
	s_delay_alu instid0(VALU_DEP_3) | instskip(NEXT) | instid1(VALU_DEP_3)
	v_fma_f64 v[40:41], v[129:130], s[16:17], v[121:122]
	v_add_f64_e32 v[16:17], v[42:43], v[18:19]
	v_add_f64_e64 v[18:19], v[18:19], -v[12:13]
	s_delay_alu instid0(VALU_DEP_4) | instskip(NEXT) | instid1(VALU_DEP_3)
	v_add_f64_e32 v[12:13], v[14:15], v[22:23]
	v_add_f64_e32 v[14:15], v[16:17], v[20:21]
	v_add_f64_e64 v[16:17], v[22:23], -v[24:25]
	v_add_f64_e64 v[20:21], v[20:21], -v[26:27]
	v_fma_f64 v[22:23], v[125:126], s[16:17], v[91:92]
	v_add_f64_e32 v[12:13], v[12:13], v[24:25]
	v_fma_f64 v[24:25], v[125:126], s[14:15], v[91:92]
	v_add_f64_e32 v[14:15], v[14:15], v[26:27]
	v_fma_f64 v[26:27], v[129:130], s[14:15], v[121:122]
	v_add_f64_e32 v[42:43], v[131:132], v[16:17]
	v_add_f64_e32 v[91:92], v[18:19], v[20:21]
	v_fma_f64 v[16:17], v[123:124], s[2:3], v[22:23]
	v_fma_f64 v[20:21], v[123:124], s[8:9], v[24:25]
	v_fma_f64 v[22:23], v[127:128], s[2:3], v[40:41]
	v_and_b32_e32 v24, 0xffff, v93
	s_delay_alu instid0(VALU_DEP_1) | instskip(NEXT) | instid1(VALU_DEP_1)
	v_mul_u32_u24_e32 v24, 55, v24
	v_add_lshl_u32 v24, v24, v94, 4
	ds_store_b128 v24, v[44:47]
	ds_store_b128 v24, v[84:87] offset:176
	ds_store_b128 v24, v[48:51] offset:352
	;; [unrolled: 1-line block ×3, first 2 shown]
	scratch_store_b32 off, v24, off offset:832 ; 4-byte Folded Spill
	ds_store_b128 v24, v[113:116] offset:704
	v_and_b32_e32 v24, 0xffff, v95
	s_delay_alu instid0(VALU_DEP_1) | instskip(NEXT) | instid1(VALU_DEP_1)
	v_mul_u32_u24_e32 v24, 55, v24
	v_add_lshl_u32 v24, v24, v96, 4
	ds_store_b128 v24, v[28:31]
	ds_store_b128 v24, v[72:75] offset:176
	ds_store_b128 v24, v[32:35] offset:352
	;; [unrolled: 1-line block ×3, first 2 shown]
	v_fma_f64 v[18:19], v[127:128], s[8:9], v[26:27]
	v_fma_f64 v[16:17], v[42:43], s[18:19], v[16:17]
	;; [unrolled: 1-line block ×4, first 2 shown]
	scratch_store_b32 off, v24, off offset:824 ; 4-byte Folded Spill
	ds_store_b128 v24, v[117:120] offset:704
	v_and_b32_e32 v24, 0xffff, v97
	v_lshlrev_b32_e32 v118, 6, v237
	s_delay_alu instid0(VALU_DEP_2) | instskip(NEXT) | instid1(VALU_DEP_1)
	v_mul_u32_u24_e32 v24, 55, v24
	v_add_lshl_u32 v24, v24, v98, 4
	v_fma_f64 v[18:19], v[91:92], s[18:19], v[18:19]
	ds_store_b128 v24, v[12:15]
	ds_store_b128 v24, v[56:59] offset:176
	ds_store_b128 v24, v[16:19] offset:352
	;; [unrolled: 1-line block ×3, first 2 shown]
	v_mad_u16 v12, v89, 55, v90
	scratch_store_b32 off, v24, off offset:820 ; 4-byte Folded Spill
	ds_store_b128 v24, v[60:63] offset:704
	v_and_b32_e32 v12, 0xffff, v12
	s_delay_alu instid0(VALU_DEP_1)
	v_lshlrev_b32_e32 v12, 4, v12
	ds_store_b128 v12, v[8:11]
	ds_store_b128 v12, v[0:3] offset:176
	ds_store_b128 v12, v[76:79] offset:352
	;; [unrolled: 1-line block ×3, first 2 shown]
	scratch_store_b32 off, v12, off offset:828 ; 4-byte Folded Spill
	ds_store_b128 v12, v[4:7] offset:704
	global_wb scope:SCOPE_SE
	s_wait_storecnt_dscnt 0x0
	s_barrier_signal -1
	s_barrier_wait -1
	global_inv scope:SCOPE_SE
	s_clause 0x3
	global_load_b128 v[212:215], v118, s[0:1] offset:704
	global_load_b128 v[208:211], v118, s[0:1] offset:720
	;; [unrolled: 1-line block ×4, first 2 shown]
	ds_load_b128 v[0:3], v196 offset:4400
	ds_load_b128 v[32:35], v196
	s_wait_loadcnt_dscnt 0x301
	v_mul_f64_e32 v[4:5], v[2:3], v[214:215]
	s_delay_alu instid0(VALU_DEP_1) | instskip(SKIP_1) | instid1(VALU_DEP_1)
	v_fma_f64 v[26:27], v[0:1], v[212:213], -v[4:5]
	v_mul_f64_e32 v[0:1], v[0:1], v[214:215]
	v_fma_f64 v[16:17], v[2:3], v[212:213], v[0:1]
	ds_load_b128 v[0:3], v196 offset:8800
	s_wait_loadcnt_dscnt 0x200
	v_mul_f64_e32 v[4:5], v[2:3], v[210:211]
	s_delay_alu instid0(VALU_DEP_1) | instskip(SKIP_1) | instid1(VALU_DEP_1)
	v_fma_f64 v[30:31], v[0:1], v[208:209], -v[4:5]
	v_mul_f64_e32 v[0:1], v[0:1], v[210:211]
	v_fma_f64 v[18:19], v[2:3], v[208:209], v[0:1]
	ds_load_b128 v[0:3], v196 offset:13200
	s_wait_loadcnt_dscnt 0x100
	v_mul_f64_e32 v[4:5], v[2:3], v[206:207]
	s_delay_alu instid0(VALU_DEP_1) | instskip(SKIP_1) | instid1(VALU_DEP_2)
	v_fma_f64 v[22:23], v[0:1], v[204:205], -v[4:5]
	v_mul_f64_e32 v[0:1], v[0:1], v[206:207]
	v_add_f64_e64 v[116:117], v[30:31], -v[22:23]
	s_delay_alu instid0(VALU_DEP_2) | instskip(SKIP_4) | instid1(VALU_DEP_2)
	v_fma_f64 v[20:21], v[2:3], v[204:205], v[0:1]
	ds_load_b128 v[0:3], v196 offset:17600
	s_wait_loadcnt_dscnt 0x0
	v_mul_f64_e32 v[4:5], v[2:3], v[202:203]
	v_add_f64_e64 v[112:113], v[18:19], -v[20:21]
	v_fma_f64 v[28:29], v[0:1], v[200:201], -v[4:5]
	v_mul_f64_e32 v[0:1], v[0:1], v[202:203]
	s_delay_alu instid0(VALU_DEP_2) | instskip(NEXT) | instid1(VALU_DEP_2)
	v_add_f64_e64 v[114:115], v[26:27], -v[28:29]
	v_fma_f64 v[24:25], v[2:3], v[200:201], v[0:1]
	ds_load_b128 v[0:3], v196 offset:5280
	s_wait_dscnt 0x0
	v_mul_f64_e32 v[4:5], v[2:3], v[214:215]
	v_add_f64_e64 v[110:111], v[16:17], -v[24:25]
	s_delay_alu instid0(VALU_DEP_2) | instskip(SKIP_1) | instid1(VALU_DEP_1)
	v_fma_f64 v[48:49], v[0:1], v[212:213], -v[4:5]
	v_mul_f64_e32 v[0:1], v[0:1], v[214:215]
	v_fma_f64 v[36:37], v[2:3], v[212:213], v[0:1]
	ds_load_b128 v[0:3], v196 offset:9680
	s_wait_dscnt 0x0
	v_mul_f64_e32 v[4:5], v[2:3], v[210:211]
	s_delay_alu instid0(VALU_DEP_1) | instskip(SKIP_1) | instid1(VALU_DEP_1)
	v_fma_f64 v[50:51], v[0:1], v[208:209], -v[4:5]
	v_mul_f64_e32 v[0:1], v[0:1], v[210:211]
	v_fma_f64 v[38:39], v[2:3], v[208:209], v[0:1]
	ds_load_b128 v[0:3], v196 offset:14080
	s_wait_dscnt 0x0
	v_mul_f64_e32 v[4:5], v[2:3], v[206:207]
	s_delay_alu instid0(VALU_DEP_1) | instskip(SKIP_1) | instid1(VALU_DEP_2)
	v_fma_f64 v[44:45], v[0:1], v[204:205], -v[4:5]
	v_mul_f64_e32 v[0:1], v[0:1], v[206:207]
	v_add_f64_e64 v[121:122], v[50:51], -v[44:45]
	s_delay_alu instid0(VALU_DEP_2) | instskip(SKIP_3) | instid1(VALU_DEP_1)
	v_fma_f64 v[40:41], v[2:3], v[204:205], v[0:1]
	ds_load_b128 v[0:3], v196 offset:18480
	s_wait_dscnt 0x0
	v_mul_f64_e32 v[4:5], v[2:3], v[202:203]
	v_fma_f64 v[46:47], v[0:1], v[200:201], -v[4:5]
	v_mul_f64_e32 v[0:1], v[0:1], v[202:203]
	s_delay_alu instid0(VALU_DEP_2) | instskip(NEXT) | instid1(VALU_DEP_2)
	v_add_f64_e64 v[119:120], v[48:49], -v[46:47]
	v_fma_f64 v[42:43], v[2:3], v[200:201], v[0:1]
	v_mul_lo_u16 v0, 0x95, v88
	s_delay_alu instid0(VALU_DEP_1) | instskip(NEXT) | instid1(VALU_DEP_1)
	v_lshrrev_b16 v0, 13, v0
	v_mul_lo_u16 v0, v0, 55
	s_delay_alu instid0(VALU_DEP_1) | instskip(NEXT) | instid1(VALU_DEP_1)
	v_sub_nc_u16 v0, v104, v0
	v_and_b32_e32 v109, 0xff, v0
	ds_load_b128 v[0:3], v196 offset:6160
	v_lshlrev_b32_e32 v6, 6, v109
	v_lshlrev_b32_e32 v197, 4, v109
	global_load_b128 v[7:10], v6, s[0:1] offset:704
	s_wait_loadcnt_dscnt 0x0
	v_mul_f64_e32 v[4:5], v[2:3], v[9:10]
	scratch_store_b128 off, v[7:10], off offset:856 ; 16-byte Folded Spill
	v_fma_f64 v[98:99], v[0:1], v[7:8], -v[4:5]
	v_mul_f64_e32 v[0:1], v[0:1], v[9:10]
	s_delay_alu instid0(VALU_DEP_1)
	v_fma_f64 v[88:89], v[2:3], v[7:8], v[0:1]
	global_load_b128 v[7:10], v6, s[0:1] offset:720
	ds_load_b128 v[0:3], v196 offset:10560
	scratch_store_b32 off, v237, off offset:144 ; 4-byte Folded Spill
	s_wait_loadcnt 0x0
	scratch_store_b128 off, v[7:10], off offset:840 ; 16-byte Folded Spill
	s_wait_dscnt 0x0
	v_mul_f64_e32 v[4:5], v[2:3], v[9:10]
	s_delay_alu instid0(VALU_DEP_1) | instskip(SKIP_1) | instid1(VALU_DEP_1)
	v_fma_f64 v[102:103], v[0:1], v[7:8], -v[4:5]
	v_mul_f64_e32 v[0:1], v[0:1], v[9:10]
	v_fma_f64 v[92:93], v[2:3], v[7:8], v[0:1]
	global_load_b128 v[7:10], v6, s[0:1] offset:736
	ds_load_b128 v[0:3], v196 offset:14960
	s_wait_loadcnt_dscnt 0x0
	v_mul_f64_e32 v[4:5], v[2:3], v[9:10]
	scratch_store_b128 off, v[7:10], off offset:888 ; 16-byte Folded Spill
	v_fma_f64 v[94:95], v[0:1], v[7:8], -v[4:5]
	v_mul_f64_e32 v[0:1], v[0:1], v[9:10]
	s_delay_alu instid0(VALU_DEP_2) | instskip(NEXT) | instid1(VALU_DEP_2)
	v_add_f64_e64 v[125:126], v[102:103], -v[94:95]
	v_fma_f64 v[90:91], v[2:3], v[7:8], v[0:1]
	global_load_b128 v[6:9], v6, s[0:1] offset:752
	ds_load_b128 v[0:3], v196 offset:19360
	s_wait_loadcnt_dscnt 0x0
	v_mul_f64_e32 v[4:5], v[2:3], v[8:9]
	scratch_store_b128 off, v[6:9], off offset:872 ; 16-byte Folded Spill
	v_fma_f64 v[100:101], v[0:1], v[6:7], -v[4:5]
	v_mul_f64_e32 v[0:1], v[0:1], v[8:9]
	s_delay_alu instid0(VALU_DEP_2) | instskip(NEXT) | instid1(VALU_DEP_2)
	v_add_f64_e64 v[123:124], v[98:99], -v[100:101]
	v_fma_f64 v[96:97], v[2:3], v[6:7], v[0:1]
	v_mul_lo_u16 v0, 0x95, v108
	s_delay_alu instid0(VALU_DEP_1) | instskip(NEXT) | instid1(VALU_DEP_1)
	v_lshrrev_b16 v0, 13, v0
	v_mul_lo_u16 v0, v0, 55
	s_delay_alu instid0(VALU_DEP_1) | instskip(NEXT) | instid1(VALU_DEP_1)
	v_sub_nc_u16 v0, v106, v0
	v_and_b32_e32 v108, 0xff, v0
	ds_load_b128 v[0:3], v196 offset:7040
	v_lshlrev_b32_e32 v6, 6, v108
	s_clause 0x1
	global_load_b128 v[7:10], v6, s[0:1] offset:704
	global_load_b128 v[244:247], v6, s[0:1] offset:752
	s_wait_loadcnt_dscnt 0x100
	v_mul_f64_e32 v[4:5], v[2:3], v[9:10]
	scratch_store_b128 off, v[7:10], off offset:904 ; 16-byte Folded Spill
	v_fma_f64 v[66:67], v[0:1], v[7:8], -v[4:5]
	v_mul_f64_e32 v[0:1], v[0:1], v[9:10]
	s_delay_alu instid0(VALU_DEP_1)
	v_fma_f64 v[56:57], v[2:3], v[7:8], v[0:1]
	global_load_b128 v[7:10], v6, s[0:1] offset:720
	ds_load_b128 v[0:3], v196 offset:11440
	s_wait_loadcnt_dscnt 0x0
	v_mul_f64_e32 v[4:5], v[2:3], v[9:10]
	scratch_store_b128 off, v[7:10], off offset:936 ; 16-byte Folded Spill
	v_fma_f64 v[70:71], v[0:1], v[7:8], -v[4:5]
	v_mul_f64_e32 v[0:1], v[0:1], v[9:10]
	s_delay_alu instid0(VALU_DEP_1)
	v_fma_f64 v[60:61], v[2:3], v[7:8], v[0:1]
	global_load_b128 v[7:10], v6, s[0:1] offset:736
	ds_load_b128 v[0:3], v196 offset:15840
	s_wait_loadcnt_dscnt 0x0
	v_mul_f64_e32 v[4:5], v[2:3], v[9:10]
	scratch_store_b128 off, v[7:10], off offset:920 ; 16-byte Folded Spill
	v_fma_f64 v[62:63], v[0:1], v[7:8], -v[4:5]
	v_mul_f64_e32 v[0:1], v[0:1], v[9:10]
	s_delay_alu instid0(VALU_DEP_2) | instskip(NEXT) | instid1(VALU_DEP_2)
	v_add_f64_e64 v[129:130], v[70:71], -v[62:63]
	v_fma_f64 v[58:59], v[2:3], v[7:8], v[0:1]
	ds_load_b128 v[0:3], v196 offset:20240
	s_wait_dscnt 0x0
	v_mul_f64_e32 v[4:5], v[2:3], v[246:247]
	s_delay_alu instid0(VALU_DEP_1) | instskip(SKIP_1) | instid1(VALU_DEP_2)
	v_fma_f64 v[68:69], v[0:1], v[244:245], -v[4:5]
	v_mul_f64_e32 v[0:1], v[0:1], v[246:247]
	v_add_f64_e64 v[127:128], v[66:67], -v[68:69]
	s_delay_alu instid0(VALU_DEP_2) | instskip(SKIP_1) | instid1(VALU_DEP_1)
	v_fma_f64 v[64:65], v[2:3], v[244:245], v[0:1]
	v_mul_u32_u24_e32 v0, 0x29e5, v107
	v_lshrrev_b32_e32 v0, 16, v0
	s_delay_alu instid0(VALU_DEP_1) | instskip(NEXT) | instid1(VALU_DEP_1)
	v_sub_nc_u16 v1, v105, v0
	v_lshrrev_b16 v1, 1, v1
	s_delay_alu instid0(VALU_DEP_1) | instskip(NEXT) | instid1(VALU_DEP_1)
	v_add_nc_u16 v0, v1, v0
	v_lshrrev_b16 v0, 5, v0
	s_delay_alu instid0(VALU_DEP_1) | instskip(NEXT) | instid1(VALU_DEP_1)
	v_mul_lo_u16 v0, v0, 55
	v_sub_nc_u16 v107, v105, v0
	s_delay_alu instid0(VALU_DEP_1) | instskip(NEXT) | instid1(VALU_DEP_1)
	v_lshlrev_b16 v0, 6, v107
	v_and_b32_e32 v0, 0xffff, v0
	s_delay_alu instid0(VALU_DEP_1)
	v_add_co_u32 v8, s20, s0, v0
	s_wait_alu 0xf1ff
	v_add_co_ci_u32_e64 v9, null, s1, 0, s20
	ds_load_b128 v[0:3], v196 offset:7920
	s_clause 0x1
	global_load_b128 v[248:251], v[8:9], off offset:704
	global_load_b128 v[252:255], v[8:9], off offset:720
	s_wait_loadcnt_dscnt 0x100
	v_mul_f64_e32 v[4:5], v[2:3], v[250:251]
	s_delay_alu instid0(VALU_DEP_1) | instskip(SKIP_1) | instid1(VALU_DEP_1)
	v_fma_f64 v[84:85], v[0:1], v[248:249], -v[4:5]
	v_mul_f64_e32 v[0:1], v[0:1], v[250:251]
	v_fma_f64 v[72:73], v[2:3], v[248:249], v[0:1]
	ds_load_b128 v[0:3], v196 offset:12320
	s_wait_loadcnt_dscnt 0x0
	v_mul_f64_e32 v[4:5], v[2:3], v[254:255]
	s_delay_alu instid0(VALU_DEP_1)
	v_fma_f64 v[86:87], v[0:1], v[252:253], -v[4:5]
	v_mul_f64_e32 v[0:1], v[0:1], v[254:255]
	ds_load_b128 v[4:7], v196 offset:16720
	v_fma_f64 v[74:75], v[2:3], v[252:253], v[0:1]
	global_load_b128 v[0:3], v[8:9], off offset:736
	s_wait_loadcnt_dscnt 0x0
	v_mul_f64_e32 v[10:11], v[6:7], v[2:3]
	s_delay_alu instid0(VALU_DEP_1) | instskip(SKIP_1) | instid1(VALU_DEP_2)
	v_fma_f64 v[76:77], v[4:5], v[0:1], -v[10:11]
	v_mul_f64_e32 v[4:5], v[4:5], v[2:3]
	v_add_f64_e64 v[133:134], v[86:87], -v[76:77]
	s_delay_alu instid0(VALU_DEP_2) | instskip(SKIP_4) | instid1(VALU_DEP_1)
	v_fma_f64 v[78:79], v[6:7], v[0:1], v[4:5]
	global_load_b128 v[4:7], v[8:9], off offset:752
	ds_load_b128 v[8:11], v196 offset:21120
	s_wait_loadcnt_dscnt 0x0
	v_mul_f64_e32 v[12:13], v[10:11], v[6:7]
	v_fma_f64 v[80:81], v[8:9], v[4:5], -v[12:13]
	v_mul_f64_e32 v[8:9], v[8:9], v[6:7]
	s_delay_alu instid0(VALU_DEP_2) | instskip(NEXT) | instid1(VALU_DEP_2)
	v_add_f64_e64 v[131:132], v[84:85], -v[80:81]
	v_fma_f64 v[82:83], v[10:11], v[4:5], v[8:9]
	v_add_f64_e64 v[8:9], v[26:27], -v[30:31]
	v_add_f64_e64 v[10:11], v[28:29], -v[22:23]
	s_delay_alu instid0(VALU_DEP_1) | instskip(SKIP_2) | instid1(VALU_DEP_1)
	v_add_f64_e32 v[12:13], v[8:9], v[10:11]
	v_add_f64_e64 v[8:9], v[16:17], -v[18:19]
	v_add_f64_e64 v[10:11], v[24:25], -v[20:21]
	v_add_f64_e32 v[14:15], v[8:9], v[10:11]
	v_add_f64_e32 v[8:9], v[30:31], v[22:23]
	s_delay_alu instid0(VALU_DEP_1) | instskip(SKIP_1) | instid1(VALU_DEP_1)
	v_fma_f64 v[52:53], v[8:9], -0.5, v[32:33]
	v_add_f64_e32 v[8:9], v[18:19], v[20:21]
	v_fma_f64 v[54:55], v[8:9], -0.5, v[34:35]
	s_delay_alu instid0(VALU_DEP_3) | instskip(SKIP_1) | instid1(VALU_DEP_3)
	v_fma_f64 v[8:9], v[110:111], s[14:15], v[52:53]
	v_fma_f64 v[52:53], v[110:111], s[16:17], v[52:53]
	;; [unrolled: 1-line block ×4, first 2 shown]
	s_delay_alu instid0(VALU_DEP_4) | instskip(NEXT) | instid1(VALU_DEP_4)
	v_fma_f64 v[8:9], v[112:113], s[2:3], v[8:9]
	v_fma_f64 v[52:53], v[112:113], s[8:9], v[52:53]
	s_delay_alu instid0(VALU_DEP_4) | instskip(NEXT) | instid1(VALU_DEP_4)
	v_fma_f64 v[10:11], v[116:117], s[8:9], v[10:11]
	v_fma_f64 v[54:55], v[116:117], s[2:3], v[54:55]
	s_delay_alu instid0(VALU_DEP_4) | instskip(NEXT) | instid1(VALU_DEP_4)
	v_fma_f64 v[8:9], v[12:13], s[18:19], v[8:9]
	v_fma_f64 v[12:13], v[12:13], s[18:19], v[52:53]
	v_add_f64_e32 v[52:53], v[26:27], v[28:29]
	v_fma_f64 v[10:11], v[14:15], s[18:19], v[10:11]
	v_fma_f64 v[14:15], v[14:15], s[18:19], v[54:55]
	v_add_f64_e32 v[54:55], v[16:17], v[24:25]
	s_delay_alu instid0(VALU_DEP_4) | instskip(SKIP_2) | instid1(VALU_DEP_4)
	v_fma_f64 v[52:53], v[52:53], -0.5, v[32:33]
	v_add_f64_e32 v[32:33], v[32:33], v[26:27]
	v_add_f64_e64 v[26:27], v[30:31], -v[26:27]
	v_fma_f64 v[54:55], v[54:55], -0.5, v[34:35]
	v_add_f64_e32 v[34:35], v[34:35], v[16:17]
	s_delay_alu instid0(VALU_DEP_4) | instskip(NEXT) | instid1(VALU_DEP_2)
	v_add_f64_e32 v[30:31], v[32:33], v[30:31]
	v_add_f64_e32 v[32:33], v[34:35], v[18:19]
	v_add_f64_e64 v[34:35], v[18:19], -v[16:17]
	s_delay_alu instid0(VALU_DEP_3)
	v_add_f64_e32 v[16:17], v[30:31], v[22:23]
	v_add_f64_e64 v[22:23], v[22:23], -v[28:29]
	v_fma_f64 v[30:31], v[116:117], s[14:15], v[54:55]
	v_add_f64_e32 v[18:19], v[32:33], v[20:21]
	v_add_f64_e64 v[20:21], v[20:21], -v[24:25]
	v_add_f64_e32 v[16:17], v[16:17], v[28:29]
	v_fma_f64 v[28:29], v[112:113], s[14:15], v[52:53]
	v_fma_f64 v[32:33], v[116:117], s[16:17], v[54:55]
	v_add_f64_e32 v[26:27], v[26:27], v[22:23]
	v_fma_f64 v[22:23], v[114:115], s[8:9], v[30:31]
	v_add_f64_e64 v[30:31], v[46:47], -v[44:45]
	v_add_f64_e64 v[116:117], v[38:39], -v[40:41]
	v_add_f64_e32 v[18:19], v[18:19], v[24:25]
	v_fma_f64 v[24:25], v[112:113], s[16:17], v[52:53]
	v_add_f64_e32 v[34:35], v[34:35], v[20:21]
	ds_load_b128 v[52:55], v196 offset:880
	v_fma_f64 v[20:21], v[110:111], s[2:3], v[24:25]
	v_fma_f64 v[24:25], v[110:111], s[8:9], v[28:29]
	;; [unrolled: 1-line block ×4, first 2 shown]
	v_add_f64_e64 v[114:115], v[36:37], -v[42:43]
	v_fma_f64 v[20:21], v[26:27], s[18:19], v[20:21]
	v_fma_f64 v[24:25], v[26:27], s[18:19], v[24:25]
	;; [unrolled: 1-line block ×3, first 2 shown]
	v_add_f64_e64 v[28:29], v[48:49], -v[50:51]
	s_delay_alu instid0(VALU_DEP_1) | instskip(SKIP_2) | instid1(VALU_DEP_1)
	v_add_f64_e32 v[32:33], v[28:29], v[30:31]
	v_add_f64_e64 v[28:29], v[36:37], -v[38:39]
	v_add_f64_e64 v[30:31], v[42:43], -v[40:41]
	v_add_f64_e32 v[34:35], v[28:29], v[30:31]
	v_add_f64_e32 v[28:29], v[50:51], v[44:45]
	s_wait_dscnt 0x0
	s_delay_alu instid0(VALU_DEP_1) | instskip(SKIP_1) | instid1(VALU_DEP_1)
	v_fma_f64 v[110:111], v[28:29], -0.5, v[52:53]
	v_add_f64_e32 v[28:29], v[38:39], v[40:41]
	v_fma_f64 v[112:113], v[28:29], -0.5, v[54:55]
	s_delay_alu instid0(VALU_DEP_3) | instskip(SKIP_1) | instid1(VALU_DEP_3)
	v_fma_f64 v[28:29], v[114:115], s[14:15], v[110:111]
	v_fma_f64 v[110:111], v[114:115], s[16:17], v[110:111]
	;; [unrolled: 1-line block ×4, first 2 shown]
	s_delay_alu instid0(VALU_DEP_4) | instskip(NEXT) | instid1(VALU_DEP_4)
	v_fma_f64 v[28:29], v[116:117], s[2:3], v[28:29]
	v_fma_f64 v[110:111], v[116:117], s[8:9], v[110:111]
	s_delay_alu instid0(VALU_DEP_4) | instskip(NEXT) | instid1(VALU_DEP_4)
	v_fma_f64 v[30:31], v[121:122], s[8:9], v[30:31]
	v_fma_f64 v[112:113], v[121:122], s[2:3], v[112:113]
	;; [unrolled: 3-line block ×3, first 2 shown]
	v_add_f64_e32 v[110:111], v[48:49], v[46:47]
	v_fma_f64 v[30:31], v[34:35], s[18:19], v[30:31]
	v_fma_f64 v[34:35], v[34:35], s[18:19], v[112:113]
	v_add_f64_e32 v[112:113], v[36:37], v[42:43]
	s_delay_alu instid0(VALU_DEP_4) | instskip(SKIP_2) | instid1(VALU_DEP_4)
	v_fma_f64 v[110:111], v[110:111], -0.5, v[52:53]
	v_add_f64_e32 v[52:53], v[52:53], v[48:49]
	v_add_f64_e64 v[48:49], v[50:51], -v[48:49]
	v_fma_f64 v[112:113], v[112:113], -0.5, v[54:55]
	v_add_f64_e32 v[54:55], v[54:55], v[36:37]
	s_delay_alu instid0(VALU_DEP_4) | instskip(NEXT) | instid1(VALU_DEP_2)
	v_add_f64_e32 v[50:51], v[52:53], v[50:51]
	v_add_f64_e32 v[52:53], v[54:55], v[38:39]
	v_add_f64_e64 v[54:55], v[38:39], -v[36:37]
	s_delay_alu instid0(VALU_DEP_3)
	v_add_f64_e32 v[36:37], v[50:51], v[44:45]
	v_add_f64_e64 v[44:45], v[44:45], -v[46:47]
	v_fma_f64 v[50:51], v[121:122], s[14:15], v[112:113]
	v_add_f64_e32 v[38:39], v[52:53], v[40:41]
	v_add_f64_e64 v[40:41], v[40:41], -v[42:43]
	v_add_f64_e32 v[36:37], v[36:37], v[46:47]
	v_fma_f64 v[46:47], v[116:117], s[14:15], v[110:111]
	v_fma_f64 v[52:53], v[121:122], s[16:17], v[112:113]
	v_add_f64_e32 v[44:45], v[48:49], v[44:45]
	v_add_f64_e64 v[121:122], v[92:93], -v[90:91]
	v_add_f64_e32 v[38:39], v[38:39], v[42:43]
	v_fma_f64 v[42:43], v[116:117], s[16:17], v[110:111]
	v_add_f64_e32 v[48:49], v[54:55], v[40:41]
	v_fma_f64 v[46:47], v[114:115], s[8:9], v[46:47]
	ds_load_b128 v[110:113], v196 offset:1760
	v_fma_f64 v[40:41], v[114:115], s[2:3], v[42:43]
	v_fma_f64 v[42:43], v[119:120], s[8:9], v[50:51]
	;; [unrolled: 1-line block ×3, first 2 shown]
	v_add_f64_e64 v[119:120], v[88:89], -v[96:97]
	s_delay_alu instid0(VALU_DEP_4) | instskip(NEXT) | instid1(VALU_DEP_4)
	v_fma_f64 v[40:41], v[44:45], s[18:19], v[40:41]
	v_fma_f64 v[42:43], v[48:49], s[18:19], v[42:43]
	;; [unrolled: 1-line block ×4, first 2 shown]
	v_add_f64_e64 v[48:49], v[98:99], -v[102:103]
	v_add_f64_e64 v[50:51], v[100:101], -v[94:95]
	s_delay_alu instid0(VALU_DEP_1) | instskip(SKIP_2) | instid1(VALU_DEP_1)
	v_add_f64_e32 v[52:53], v[48:49], v[50:51]
	v_add_f64_e64 v[48:49], v[88:89], -v[92:93]
	v_add_f64_e64 v[50:51], v[96:97], -v[90:91]
	v_add_f64_e32 v[54:55], v[48:49], v[50:51]
	v_add_f64_e32 v[48:49], v[102:103], v[94:95]
	s_wait_dscnt 0x0
	s_delay_alu instid0(VALU_DEP_1) | instskip(SKIP_1) | instid1(VALU_DEP_1)
	v_fma_f64 v[114:115], v[48:49], -0.5, v[110:111]
	v_add_f64_e32 v[48:49], v[92:93], v[90:91]
	v_fma_f64 v[116:117], v[48:49], -0.5, v[112:113]
	s_delay_alu instid0(VALU_DEP_3) | instskip(SKIP_1) | instid1(VALU_DEP_3)
	v_fma_f64 v[48:49], v[119:120], s[14:15], v[114:115]
	v_fma_f64 v[114:115], v[119:120], s[16:17], v[114:115]
	;; [unrolled: 1-line block ×4, first 2 shown]
	s_delay_alu instid0(VALU_DEP_4) | instskip(NEXT) | instid1(VALU_DEP_4)
	v_fma_f64 v[48:49], v[121:122], s[2:3], v[48:49]
	v_fma_f64 v[114:115], v[121:122], s[8:9], v[114:115]
	s_delay_alu instid0(VALU_DEP_4) | instskip(NEXT) | instid1(VALU_DEP_4)
	v_fma_f64 v[50:51], v[125:126], s[8:9], v[50:51]
	v_fma_f64 v[116:117], v[125:126], s[2:3], v[116:117]
	;; [unrolled: 3-line block ×3, first 2 shown]
	v_add_f64_e32 v[114:115], v[98:99], v[100:101]
	v_fma_f64 v[50:51], v[54:55], s[18:19], v[50:51]
	v_fma_f64 v[54:55], v[54:55], s[18:19], v[116:117]
	v_add_f64_e32 v[116:117], v[88:89], v[96:97]
	s_delay_alu instid0(VALU_DEP_4) | instskip(SKIP_2) | instid1(VALU_DEP_4)
	v_fma_f64 v[114:115], v[114:115], -0.5, v[110:111]
	v_add_f64_e32 v[110:111], v[110:111], v[98:99]
	v_add_f64_e64 v[98:99], v[102:103], -v[98:99]
	v_fma_f64 v[116:117], v[116:117], -0.5, v[112:113]
	v_add_f64_e32 v[112:113], v[112:113], v[88:89]
	v_add_f64_e64 v[88:89], v[92:93], -v[88:89]
	v_add_f64_e32 v[102:103], v[110:111], v[102:103]
	s_delay_alu instid0(VALU_DEP_3) | instskip(SKIP_1) | instid1(VALU_DEP_3)
	v_add_f64_e32 v[110:111], v[112:113], v[92:93]
	v_fma_f64 v[112:113], v[125:126], s[16:17], v[116:117]
	v_add_f64_e32 v[92:93], v[102:103], v[94:95]
	s_delay_alu instid0(VALU_DEP_3) | instskip(SKIP_1) | instid1(VALU_DEP_3)
	v_add_f64_e32 v[102:103], v[110:111], v[90:91]
	v_add_f64_e64 v[110:111], v[94:95], -v[100:101]
	v_add_f64_e32 v[92:93], v[92:93], v[100:101]
	v_add_f64_e64 v[90:91], v[90:91], -v[96:97]
	v_fma_f64 v[100:101], v[121:122], s[14:15], v[114:115]
	v_add_f64_e32 v[94:95], v[102:103], v[96:97]
	v_fma_f64 v[96:97], v[121:122], s[16:17], v[114:115]
	v_fma_f64 v[102:103], v[125:126], s[14:15], v[116:117]
	v_add_f64_e32 v[98:99], v[98:99], v[110:111]
	v_add_f64_e32 v[110:111], v[88:89], v[90:91]
	v_add_f64_e64 v[125:126], v[60:61], -v[58:59]
	v_fma_f64 v[88:89], v[119:120], s[2:3], v[96:97]
	v_fma_f64 v[96:97], v[119:120], s[8:9], v[100:101]
	;; [unrolled: 1-line block ×4, first 2 shown]
	v_add_f64_e64 v[102:103], v[68:69], -v[62:63]
	v_add_f64_e64 v[123:124], v[56:57], -v[64:65]
	v_fma_f64 v[88:89], v[98:99], s[18:19], v[88:89]
	v_fma_f64 v[96:97], v[98:99], s[18:19], v[96:97]
	;; [unrolled: 1-line block ×3, first 2 shown]
	v_add_f64_e64 v[100:101], v[66:67], -v[70:71]
	v_fma_f64 v[90:91], v[110:111], s[18:19], v[90:91]
	v_add_f64_e32 v[110:111], v[70:71], v[62:63]
	s_delay_alu instid0(VALU_DEP_3) | instskip(SKIP_2) | instid1(VALU_DEP_1)
	v_add_f64_e32 v[114:115], v[100:101], v[102:103]
	v_add_f64_e64 v[100:101], v[56:57], -v[60:61]
	v_add_f64_e64 v[102:103], v[64:65], -v[58:59]
	v_add_f64_e32 v[116:117], v[100:101], v[102:103]
	ds_load_b128 v[100:103], v196 offset:2640
	s_wait_dscnt 0x0
	v_fma_f64 v[119:120], v[110:111], -0.5, v[100:101]
	v_add_f64_e32 v[110:111], v[60:61], v[58:59]
	s_delay_alu instid0(VALU_DEP_1) | instskip(NEXT) | instid1(VALU_DEP_3)
	v_fma_f64 v[121:122], v[110:111], -0.5, v[102:103]
	v_fma_f64 v[110:111], v[123:124], s[14:15], v[119:120]
	v_fma_f64 v[119:120], v[123:124], s[16:17], v[119:120]
	s_delay_alu instid0(VALU_DEP_3) | instskip(SKIP_1) | instid1(VALU_DEP_4)
	v_fma_f64 v[112:113], v[127:128], s[16:17], v[121:122]
	v_fma_f64 v[121:122], v[127:128], s[14:15], v[121:122]
	;; [unrolled: 1-line block ×3, first 2 shown]
	s_delay_alu instid0(VALU_DEP_4) | instskip(NEXT) | instid1(VALU_DEP_4)
	v_fma_f64 v[119:120], v[125:126], s[8:9], v[119:120]
	v_fma_f64 v[112:113], v[129:130], s[8:9], v[112:113]
	s_delay_alu instid0(VALU_DEP_4) | instskip(NEXT) | instid1(VALU_DEP_4)
	v_fma_f64 v[121:122], v[129:130], s[2:3], v[121:122]
	v_fma_f64 v[110:111], v[114:115], s[18:19], v[110:111]
	s_delay_alu instid0(VALU_DEP_4) | instskip(SKIP_4) | instid1(VALU_DEP_4)
	v_fma_f64 v[114:115], v[114:115], s[18:19], v[119:120]
	v_add_f64_e32 v[119:120], v[66:67], v[68:69]
	v_fma_f64 v[112:113], v[116:117], s[18:19], v[112:113]
	v_fma_f64 v[116:117], v[116:117], s[18:19], v[121:122]
	v_add_f64_e32 v[121:122], v[56:57], v[64:65]
	v_fma_f64 v[119:120], v[119:120], -0.5, v[100:101]
	v_add_f64_e32 v[100:101], v[100:101], v[66:67]
	v_add_f64_e64 v[66:67], v[70:71], -v[66:67]
	s_delay_alu instid0(VALU_DEP_4) | instskip(SKIP_3) | instid1(VALU_DEP_3)
	v_fma_f64 v[121:122], v[121:122], -0.5, v[102:103]
	v_add_f64_e32 v[102:103], v[102:103], v[56:57]
	v_add_f64_e64 v[56:57], v[60:61], -v[56:57]
	v_add_f64_e32 v[70:71], v[100:101], v[70:71]
	v_add_f64_e32 v[100:101], v[102:103], v[60:61]
	v_fma_f64 v[102:103], v[129:130], s[16:17], v[121:122]
	s_delay_alu instid0(VALU_DEP_3) | instskip(NEXT) | instid1(VALU_DEP_3)
	v_add_f64_e32 v[60:61], v[70:71], v[62:63]
	v_add_f64_e32 v[70:71], v[100:101], v[58:59]
	v_add_f64_e64 v[100:101], v[62:63], -v[68:69]
	s_delay_alu instid0(VALU_DEP_3)
	v_add_f64_e32 v[60:61], v[60:61], v[68:69]
	v_add_f64_e64 v[58:59], v[58:59], -v[64:65]
	v_fma_f64 v[68:69], v[125:126], s[14:15], v[119:120]
	v_add_f64_e32 v[62:63], v[70:71], v[64:65]
	v_fma_f64 v[64:65], v[125:126], s[16:17], v[119:120]
	v_fma_f64 v[70:71], v[129:130], s[14:15], v[121:122]
	v_add_f64_e32 v[66:67], v[66:67], v[100:101]
	v_add_f64_e32 v[100:101], v[56:57], v[58:59]
	v_add_f64_e64 v[129:130], v[74:75], -v[78:79]
	v_fma_f64 v[56:57], v[123:124], s[2:3], v[64:65]
	v_fma_f64 v[64:65], v[123:124], s[8:9], v[68:69]
	;; [unrolled: 1-line block ×4, first 2 shown]
	v_add_f64_e64 v[70:71], v[80:81], -v[76:77]
	v_add_f64_e64 v[127:128], v[72:73], -v[82:83]
	v_fma_f64 v[56:57], v[66:67], s[18:19], v[56:57]
	v_fma_f64 v[64:65], v[66:67], s[18:19], v[64:65]
	;; [unrolled: 1-line block ×3, first 2 shown]
	v_add_f64_e64 v[68:69], v[84:85], -v[86:87]
	v_fma_f64 v[58:59], v[100:101], s[18:19], v[58:59]
	v_add_f64_e32 v[100:101], v[86:87], v[76:77]
	s_delay_alu instid0(VALU_DEP_3) | instskip(SKIP_2) | instid1(VALU_DEP_1)
	v_add_f64_e32 v[119:120], v[68:69], v[70:71]
	v_add_f64_e64 v[68:69], v[72:73], -v[74:75]
	v_add_f64_e64 v[70:71], v[82:83], -v[78:79]
	v_add_f64_e32 v[121:122], v[68:69], v[70:71]
	ds_load_b128 v[68:71], v196 offset:3520
	global_wb scope:SCOPE_SE
	s_wait_storecnt_dscnt 0x0
	s_barrier_signal -1
	s_barrier_wait -1
	global_inv scope:SCOPE_SE
	ds_store_b128 v196, v[16:19]
	ds_store_b128 v196, v[36:39] offset:4400
	ds_store_b128 v196, v[8:11] offset:880
	ds_store_b128 v196, v[20:23] offset:1760
	ds_store_b128 v196, v[24:27] offset:2640
	ds_store_b128 v196, v[12:15] offset:3520
	ds_store_b128 v196, v[28:31] offset:5280
	ds_store_b128 v196, v[40:43] offset:6160
	ds_store_b128 v196, v[44:47] offset:7040
	ds_store_b128 v196, v[32:35] offset:7920
	v_lshlrev_b32_e32 v8, 4, v108
	ds_store_b128 v197, v[92:95] offset:8800
	ds_store_b128 v197, v[48:51] offset:9680
	;; [unrolled: 1-line block ×9, first 2 shown]
	scratch_store_b32 off, v8, off offset:952 ; 4-byte Folded Spill
	ds_store_b128 v8, v[114:117] offset:16720
	v_and_b32_e32 v8, 0xffff, v107
	v_lshlrev_b32_e32 v14, 6, v192
	v_lshlrev_b32_e32 v26, 6, v104
	s_delay_alu instid0(VALU_DEP_3) | instskip(SKIP_2) | instid1(VALU_DEP_1)
	v_lshlrev_b32_e32 v8, 4, v8
	v_fma_f64 v[123:124], v[100:101], -0.5, v[68:69]
	v_add_f64_e32 v[100:101], v[74:75], v[78:79]
	v_fma_f64 v[125:126], v[100:101], -0.5, v[70:71]
	s_delay_alu instid0(VALU_DEP_3) | instskip(SKIP_1) | instid1(VALU_DEP_3)
	v_fma_f64 v[100:101], v[127:128], s[14:15], v[123:124]
	v_fma_f64 v[123:124], v[127:128], s[16:17], v[123:124]
	;; [unrolled: 1-line block ×4, first 2 shown]
	s_delay_alu instid0(VALU_DEP_4) | instskip(NEXT) | instid1(VALU_DEP_4)
	v_fma_f64 v[100:101], v[129:130], s[2:3], v[100:101]
	v_fma_f64 v[123:124], v[129:130], s[8:9], v[123:124]
	s_delay_alu instid0(VALU_DEP_4) | instskip(NEXT) | instid1(VALU_DEP_4)
	v_fma_f64 v[102:103], v[133:134], s[8:9], v[102:103]
	v_fma_f64 v[125:126], v[133:134], s[2:3], v[125:126]
	;; [unrolled: 3-line block ×3, first 2 shown]
	v_add_f64_e32 v[123:124], v[84:85], v[80:81]
	v_fma_f64 v[102:103], v[121:122], s[18:19], v[102:103]
	v_fma_f64 v[121:122], v[121:122], s[18:19], v[125:126]
	v_add_f64_e32 v[125:126], v[72:73], v[82:83]
	s_delay_alu instid0(VALU_DEP_4) | instskip(SKIP_2) | instid1(VALU_DEP_4)
	v_fma_f64 v[123:124], v[123:124], -0.5, v[68:69]
	v_add_f64_e32 v[68:69], v[68:69], v[84:85]
	v_add_f64_e64 v[84:85], v[86:87], -v[84:85]
	v_fma_f64 v[125:126], v[125:126], -0.5, v[70:71]
	v_add_f64_e32 v[70:71], v[70:71], v[72:73]
	v_add_f64_e64 v[72:73], v[74:75], -v[72:73]
	v_add_f64_e32 v[68:69], v[68:69], v[86:87]
	s_delay_alu instid0(VALU_DEP_4) | instskip(NEXT) | instid1(VALU_DEP_4)
	v_fma_f64 v[86:87], v[133:134], s[16:17], v[125:126]
	v_add_f64_e32 v[70:71], v[70:71], v[74:75]
	v_add_f64_e64 v[74:75], v[76:77], -v[80:81]
	s_delay_alu instid0(VALU_DEP_4) | instskip(SKIP_1) | instid1(VALU_DEP_4)
	v_add_f64_e32 v[68:69], v[68:69], v[76:77]
	v_add_f64_e64 v[76:77], v[78:79], -v[82:83]
	v_add_f64_e32 v[70:71], v[70:71], v[78:79]
	v_fma_f64 v[78:79], v[129:130], s[16:17], v[123:124]
	s_delay_alu instid0(VALU_DEP_4)
	v_add_f64_e32 v[68:69], v[68:69], v[80:81]
	v_fma_f64 v[80:81], v[129:130], s[14:15], v[123:124]
	v_add_f64_e32 v[84:85], v[84:85], v[74:75]
	v_add_f64_e32 v[123:124], v[72:73], v[76:77]
	v_add_f64_e32 v[70:71], v[70:71], v[82:83]
	v_fma_f64 v[82:83], v[133:134], s[14:15], v[125:126]
	v_fma_f64 v[72:73], v[127:128], s[2:3], v[78:79]
	;; [unrolled: 1-line block ×4, first 2 shown]
	s_delay_alu instid0(VALU_DEP_4) | instskip(NEXT) | instid1(VALU_DEP_4)
	v_fma_f64 v[74:75], v[131:132], s[8:9], v[82:83]
	v_fma_f64 v[72:73], v[84:85], s[18:19], v[72:73]
	s_delay_alu instid0(VALU_DEP_4) | instskip(NEXT) | instid1(VALU_DEP_4)
	v_fma_f64 v[76:77], v[84:85], s[18:19], v[76:77]
	v_fma_f64 v[78:79], v[123:124], s[18:19], v[78:79]
	s_delay_alu instid0(VALU_DEP_4)
	v_fma_f64 v[74:75], v[123:124], s[18:19], v[74:75]
	ds_store_b128 v8, v[68:71] offset:17600
	ds_store_b128 v8, v[100:103] offset:18480
	;; [unrolled: 1-line block ×4, first 2 shown]
	scratch_store_b32 off, v8, off offset:956 ; 4-byte Folded Spill
	ds_store_b128 v8, v[119:122] offset:21120
	global_wb scope:SCOPE_SE
	s_wait_storecnt_dscnt 0x0
	s_barrier_signal -1
	s_barrier_wait -1
	global_inv scope:SCOPE_SE
	s_clause 0x3
	global_load_b128 v[32:35], v118, s[0:1] offset:4224
	global_load_b128 v[52:55], v118, s[0:1] offset:4240
	;; [unrolled: 1-line block ×4, first 2 shown]
	ds_load_b128 v[8:11], v196 offset:4400
	ds_load_b128 v[124:127], v196
	s_clause 0x5
	global_load_b128 v[28:31], v14, s[0:1] offset:4224
	global_load_b128 v[20:23], v14, s[0:1] offset:4240
	;; [unrolled: 1-line block ×6, first 2 shown]
	v_lshlrev_b32_e32 v102, 6, v105
	s_clause 0x1
	global_load_b128 v[68:71], v26, s[0:1] offset:4272
	global_load_b128 v[60:63], v102, s[0:1] offset:4224
	v_lshlrev_b32_e32 v26, 6, v106
	s_clause 0x4
	global_load_b128 v[36:39], v102, s[0:1] offset:4240
	global_load_b128 v[84:87], v26, s[0:1] offset:4240
	;; [unrolled: 1-line block ×5, first 2 shown]
	s_wait_loadcnt_dscnt 0x1001
	v_mul_f64_e32 v[12:13], v[10:11], v[34:35]
	s_delay_alu instid0(VALU_DEP_1) | instskip(SKIP_1) | instid1(VALU_DEP_1)
	v_fma_f64 v[116:117], v[8:9], v[32:33], -v[12:13]
	v_mul_f64_e32 v[8:9], v[8:9], v[34:35]
	v_fma_f64 v[108:109], v[10:11], v[32:33], v[8:9]
	ds_load_b128 v[8:11], v196 offset:8800
	s_wait_loadcnt_dscnt 0xf00
	v_mul_f64_e32 v[12:13], v[10:11], v[54:55]
	s_delay_alu instid0(VALU_DEP_1) | instskip(SKIP_1) | instid1(VALU_DEP_2)
	v_fma_f64 v[122:123], v[8:9], v[52:53], -v[12:13]
	v_mul_f64_e32 v[8:9], v[8:9], v[54:55]
	v_add_f64_e64 v[192:193], v[122:123], -v[116:117]
	s_delay_alu instid0(VALU_DEP_2) | instskip(SKIP_3) | instid1(VALU_DEP_1)
	v_fma_f64 v[112:113], v[10:11], v[52:53], v[8:9]
	ds_load_b128 v[8:11], v196 offset:13200
	s_wait_loadcnt_dscnt 0xe00
	v_mul_f64_e32 v[12:13], v[10:11], v[50:51]
	v_fma_f64 v[114:115], v[8:9], v[48:49], -v[12:13]
	v_mul_f64_e32 v[8:9], v[8:9], v[50:51]
	s_delay_alu instid0(VALU_DEP_2) | instskip(NEXT) | instid1(VALU_DEP_2)
	v_add_f64_e64 v[190:191], v[122:123], -v[114:115]
	v_fma_f64 v[110:111], v[10:11], v[48:49], v[8:9]
	ds_load_b128 v[8:11], v196 offset:17600
	s_wait_loadcnt_dscnt 0xd00
	v_mul_f64_e32 v[12:13], v[10:11], v[46:47]
	v_add_f64_e64 v[186:187], v[112:113], -v[110:111]
	s_delay_alu instid0(VALU_DEP_2) | instskip(SKIP_1) | instid1(VALU_DEP_2)
	v_fma_f64 v[118:119], v[8:9], v[44:45], -v[12:13]
	v_mul_f64_e32 v[8:9], v[8:9], v[46:47]
	v_add_f64_e64 v[188:189], v[116:117], -v[118:119]
	s_delay_alu instid0(VALU_DEP_2) | instskip(SKIP_4) | instid1(VALU_DEP_2)
	v_fma_f64 v[120:121], v[10:11], v[44:45], v[8:9]
	ds_load_b128 v[8:11], v196 offset:5280
	s_wait_loadcnt_dscnt 0xc00
	v_mul_f64_e32 v[12:13], v[10:11], v[30:31]
	v_add_f64_e64 v[184:185], v[108:109], -v[120:121]
	v_fma_f64 v[136:137], v[8:9], v[28:29], -v[12:13]
	v_mul_f64_e32 v[8:9], v[8:9], v[30:31]
	s_delay_alu instid0(VALU_DEP_1) | instskip(SKIP_3) | instid1(VALU_DEP_1)
	v_fma_f64 v[128:129], v[10:11], v[28:29], v[8:9]
	ds_load_b128 v[8:11], v196 offset:9680
	s_wait_loadcnt_dscnt 0xb00
	v_mul_f64_e32 v[12:13], v[10:11], v[22:23]
	v_fma_f64 v[142:143], v[8:9], v[20:21], -v[12:13]
	v_mul_f64_e32 v[8:9], v[8:9], v[22:23]
	s_delay_alu instid0(VALU_DEP_2) | instskip(NEXT) | instid1(VALU_DEP_2)
	v_add_f64_e64 v[216:217], v[142:143], -v[136:137]
	v_fma_f64 v[132:133], v[10:11], v[20:21], v[8:9]
	ds_load_b128 v[8:11], v196 offset:14080
	s_wait_loadcnt_dscnt 0xa00
	v_mul_f64_e32 v[12:13], v[10:11], v[18:19]
	s_delay_alu instid0(VALU_DEP_1) | instskip(SKIP_3) | instid1(VALU_DEP_2)
	v_fma_f64 v[134:135], v[8:9], v[16:17], -v[12:13]
	global_load_b128 v[12:15], v14, s[0:1] offset:4272
	v_mul_f64_e32 v[8:9], v[8:9], v[18:19]
	v_add_f64_e64 v[194:195], v[142:143], -v[134:135]
	v_fma_f64 v[130:131], v[10:11], v[16:17], v[8:9]
	ds_load_b128 v[8:11], v196 offset:18480
	s_wait_loadcnt_dscnt 0x0
	v_mul_f64_e32 v[24:25], v[10:11], v[14:15]
	s_delay_alu instid0(VALU_DEP_1) | instskip(SKIP_1) | instid1(VALU_DEP_1)
	v_fma_f64 v[138:139], v[8:9], v[12:13], -v[24:25]
	v_mul_f64_e32 v[8:9], v[8:9], v[14:15]
	v_fma_f64 v[140:141], v[10:11], v[12:13], v[8:9]
	ds_load_b128 v[8:11], v196 offset:6160
	s_wait_dscnt 0x0
	v_mul_f64_e32 v[24:25], v[10:11], v[42:43]
	s_delay_alu instid0(VALU_DEP_1) | instskip(SKIP_1) | instid1(VALU_DEP_1)
	v_fma_f64 v[152:153], v[8:9], v[40:41], -v[24:25]
	v_mul_f64_e32 v[8:9], v[8:9], v[42:43]
	v_fma_f64 v[148:149], v[10:11], v[40:41], v[8:9]
	ds_load_b128 v[8:11], v196 offset:10560
	s_wait_dscnt 0x0
	;; [unrolled: 7-line block ×3, first 2 shown]
	v_mul_f64_e32 v[24:25], v[10:11], v[74:75]
	s_delay_alu instid0(VALU_DEP_1) | instskip(SKIP_1) | instid1(VALU_DEP_2)
	v_fma_f64 v[156:157], v[8:9], v[72:73], -v[24:25]
	v_mul_f64_e32 v[8:9], v[8:9], v[74:75]
	v_add_f64_e64 v[218:219], v[158:159], -v[156:157]
	s_delay_alu instid0(VALU_DEP_2) | instskip(SKIP_3) | instid1(VALU_DEP_1)
	v_fma_f64 v[150:151], v[10:11], v[72:73], v[8:9]
	ds_load_b128 v[8:11], v196 offset:19360
	s_wait_dscnt 0x0
	v_mul_f64_e32 v[24:25], v[10:11], v[70:71]
	v_fma_f64 v[182:183], v[8:9], v[68:69], -v[24:25]
	v_mul_f64_e32 v[8:9], v[8:9], v[70:71]
	s_delay_alu instid0(VALU_DEP_1) | instskip(SKIP_3) | instid1(VALU_DEP_1)
	v_fma_f64 v[180:181], v[10:11], v[68:69], v[8:9]
	ds_load_b128 v[8:11], v196 offset:7040
	s_wait_dscnt 0x0
	v_mul_f64_e32 v[24:25], v[10:11], v[66:67]
	v_fma_f64 v[98:99], v[8:9], v[64:65], -v[24:25]
	v_mul_f64_e32 v[8:9], v[8:9], v[66:67]
	s_delay_alu instid0(VALU_DEP_1) | instskip(SKIP_3) | instid1(VALU_DEP_1)
	;; [unrolled: 7-line block ×3, first 2 shown]
	v_fma_f64 v[96:97], v[10:11], v[84:85], v[8:9]
	ds_load_b128 v[8:11], v196 offset:15840
	s_wait_dscnt 0x0
	v_mul_f64_e32 v[24:25], v[10:11], v[82:83]
	v_fma_f64 v[172:173], v[8:9], v[80:81], -v[24:25]
	v_mul_f64_e32 v[8:9], v[8:9], v[82:83]
	s_delay_alu instid0(VALU_DEP_2) | instskip(NEXT) | instid1(VALU_DEP_2)
	v_add_f64_e64 v[222:223], v[176:177], -v[172:173]
	v_fma_f64 v[90:91], v[10:11], v[80:81], v[8:9]
	ds_load_b128 v[8:11], v196 offset:20240
	s_wait_dscnt 0x0
	v_mul_f64_e32 v[24:25], v[10:11], v[58:59]
	s_delay_alu instid0(VALU_DEP_1) | instskip(SKIP_1) | instid1(VALU_DEP_2)
	v_fma_f64 v[178:179], v[8:9], v[56:57], -v[24:25]
	v_mul_f64_e32 v[8:9], v[8:9], v[58:59]
	v_add_f64_e64 v[220:221], v[98:99], -v[178:179]
	s_delay_alu instid0(VALU_DEP_2) | instskip(SKIP_3) | instid1(VALU_DEP_1)
	v_fma_f64 v[174:175], v[10:11], v[56:57], v[8:9]
	ds_load_b128 v[8:11], v196 offset:7920
	s_wait_dscnt 0x0
	v_mul_f64_e32 v[24:25], v[10:11], v[62:63]
	v_fma_f64 v[94:95], v[8:9], v[60:61], -v[24:25]
	v_mul_f64_e32 v[8:9], v[8:9], v[62:63]
	s_delay_alu instid0(VALU_DEP_1) | instskip(SKIP_3) | instid1(VALU_DEP_1)
	v_fma_f64 v[92:93], v[10:11], v[60:61], v[8:9]
	ds_load_b128 v[8:11], v196 offset:12320
	s_wait_dscnt 0x0
	v_mul_f64_e32 v[24:25], v[10:11], v[38:39]
	v_fma_f64 v[160:161], v[8:9], v[36:37], -v[24:25]
	global_load_b128 v[24:27], v102, s[0:1] offset:4256
	v_mul_f64_e32 v[8:9], v[8:9], v[38:39]
	s_delay_alu instid0(VALU_DEP_1) | instskip(SKIP_3) | instid1(VALU_DEP_1)
	v_fma_f64 v[162:163], v[10:11], v[36:37], v[8:9]
	ds_load_b128 v[8:11], v196 offset:16720
	s_wait_loadcnt_dscnt 0x0
	v_mul_f64_e32 v[100:101], v[10:11], v[26:27]
	v_fma_f64 v[166:167], v[8:9], v[24:25], -v[100:101]
	v_mul_f64_e32 v[8:9], v[8:9], v[26:27]
	s_delay_alu instid0(VALU_DEP_2) | instskip(NEXT) | instid1(VALU_DEP_2)
	v_add_f64_e64 v[224:225], v[160:161], -v[166:167]
	v_fma_f64 v[164:165], v[10:11], v[24:25], v[8:9]
	global_load_b128 v[8:11], v102, s[0:1] offset:4272
	ds_load_b128 v[100:103], v196 offset:21120
	s_add_nc_u64 s[0:1], s[12:13], 0x55f0
	s_wait_loadcnt_dscnt 0x0
	v_mul_f64_e32 v[104:105], v[102:103], v[10:11]
	s_delay_alu instid0(VALU_DEP_1) | instskip(SKIP_1) | instid1(VALU_DEP_2)
	v_fma_f64 v[168:169], v[100:101], v[8:9], -v[104:105]
	v_mul_f64_e32 v[100:101], v[100:101], v[10:11]
	v_add_f64_e64 v[226:227], v[94:95], -v[168:169]
	s_delay_alu instid0(VALU_DEP_2) | instskip(SKIP_2) | instid1(VALU_DEP_1)
	v_fma_f64 v[170:171], v[102:103], v[8:9], v[100:101]
	v_add_f64_e64 v[100:101], v[116:117], -v[122:123]
	v_add_f64_e64 v[102:103], v[118:119], -v[114:115]
	v_add_f64_e32 v[104:105], v[100:101], v[102:103]
	v_add_f64_e64 v[100:101], v[108:109], -v[112:113]
	v_add_f64_e64 v[102:103], v[120:121], -v[110:111]
	s_delay_alu instid0(VALU_DEP_1) | instskip(SKIP_1) | instid1(VALU_DEP_1)
	v_add_f64_e32 v[106:107], v[100:101], v[102:103]
	v_add_f64_e32 v[100:101], v[122:123], v[114:115]
	v_fma_f64 v[144:145], v[100:101], -0.5, v[124:125]
	v_add_f64_e32 v[100:101], v[112:113], v[110:111]
	s_delay_alu instid0(VALU_DEP_1) | instskip(NEXT) | instid1(VALU_DEP_3)
	v_fma_f64 v[146:147], v[100:101], -0.5, v[126:127]
	v_fma_f64 v[100:101], v[184:185], s[14:15], v[144:145]
	v_fma_f64 v[144:145], v[184:185], s[16:17], v[144:145]
	s_delay_alu instid0(VALU_DEP_3) | instskip(SKIP_1) | instid1(VALU_DEP_4)
	v_fma_f64 v[102:103], v[188:189], s[16:17], v[146:147]
	v_fma_f64 v[146:147], v[188:189], s[14:15], v[146:147]
	;; [unrolled: 1-line block ×3, first 2 shown]
	s_delay_alu instid0(VALU_DEP_4) | instskip(NEXT) | instid1(VALU_DEP_4)
	v_fma_f64 v[144:145], v[186:187], s[8:9], v[144:145]
	v_fma_f64 v[102:103], v[190:191], s[8:9], v[102:103]
	s_delay_alu instid0(VALU_DEP_4) | instskip(NEXT) | instid1(VALU_DEP_4)
	v_fma_f64 v[146:147], v[190:191], s[2:3], v[146:147]
	v_fma_f64 v[100:101], v[104:105], s[18:19], v[100:101]
	s_delay_alu instid0(VALU_DEP_4) | instskip(SKIP_4) | instid1(VALU_DEP_4)
	v_fma_f64 v[104:105], v[104:105], s[18:19], v[144:145]
	v_add_f64_e32 v[144:145], v[116:117], v[118:119]
	v_fma_f64 v[102:103], v[106:107], s[18:19], v[102:103]
	v_fma_f64 v[106:107], v[106:107], s[18:19], v[146:147]
	v_add_f64_e32 v[146:147], v[108:109], v[120:121]
	v_fma_f64 v[144:145], v[144:145], -0.5, v[124:125]
	v_add_f64_e32 v[124:125], v[124:125], v[116:117]
	s_delay_alu instid0(VALU_DEP_3) | instskip(SKIP_2) | instid1(VALU_DEP_4)
	v_fma_f64 v[146:147], v[146:147], -0.5, v[126:127]
	v_add_f64_e32 v[126:127], v[126:127], v[108:109]
	v_add_f64_e64 v[108:109], v[112:113], -v[108:109]
	v_add_f64_e32 v[116:117], v[124:125], v[122:123]
	s_delay_alu instid0(VALU_DEP_4) | instskip(NEXT) | instid1(VALU_DEP_4)
	v_fma_f64 v[124:125], v[190:191], s[16:17], v[146:147]
	v_add_f64_e32 v[122:123], v[126:127], v[112:113]
	s_delay_alu instid0(VALU_DEP_3) | instskip(SKIP_1) | instid1(VALU_DEP_3)
	v_add_f64_e32 v[112:113], v[116:117], v[114:115]
	v_add_f64_e64 v[114:115], v[114:115], -v[118:119]
	v_add_f64_e32 v[122:123], v[122:123], v[110:111]
	v_add_f64_e64 v[110:111], v[110:111], -v[120:121]
	s_delay_alu instid0(VALU_DEP_4)
	v_add_f64_e32 v[116:117], v[112:113], v[118:119]
	v_fma_f64 v[112:113], v[186:187], s[16:17], v[144:145]
	v_add_f64_e32 v[114:115], v[192:193], v[114:115]
	v_add_f64_e64 v[192:193], v[136:137], -v[138:139]
	v_add_f64_e32 v[118:119], v[122:123], v[120:121]
	v_fma_f64 v[120:121], v[186:187], s[14:15], v[144:145]
	v_fma_f64 v[122:123], v[190:191], s[14:15], v[146:147]
	v_add_f64_e32 v[126:127], v[108:109], v[110:111]
	v_fma_f64 v[108:109], v[184:185], s[2:3], v[112:113]
	ds_load_b128 v[144:147], v196 offset:880
	v_add_f64_e64 v[190:191], v[132:133], -v[130:131]
	v_fma_f64 v[112:113], v[184:185], s[8:9], v[120:121]
	v_fma_f64 v[120:121], v[188:189], s[2:3], v[124:125]
	;; [unrolled: 1-line block ×4, first 2 shown]
	v_add_f64_e64 v[122:123], v[138:139], -v[134:135]
	v_add_f64_e64 v[188:189], v[128:129], -v[140:141]
	v_fma_f64 v[112:113], v[114:115], s[18:19], v[112:113]
	v_fma_f64 v[114:115], v[126:127], s[18:19], v[120:121]
	v_add_f64_e64 v[120:121], v[136:137], -v[142:143]
	v_fma_f64 v[110:111], v[126:127], s[18:19], v[110:111]
	s_delay_alu instid0(VALU_DEP_2) | instskip(SKIP_2) | instid1(VALU_DEP_1)
	v_add_f64_e32 v[124:125], v[120:121], v[122:123]
	v_add_f64_e64 v[120:121], v[128:129], -v[132:133]
	v_add_f64_e64 v[122:123], v[140:141], -v[130:131]
	v_add_f64_e32 v[126:127], v[120:121], v[122:123]
	v_add_f64_e32 v[120:121], v[142:143], v[134:135]
	s_wait_dscnt 0x0
	s_delay_alu instid0(VALU_DEP_1) | instskip(SKIP_1) | instid1(VALU_DEP_1)
	v_fma_f64 v[184:185], v[120:121], -0.5, v[144:145]
	v_add_f64_e32 v[120:121], v[132:133], v[130:131]
	v_fma_f64 v[186:187], v[120:121], -0.5, v[146:147]
	s_delay_alu instid0(VALU_DEP_3) | instskip(SKIP_1) | instid1(VALU_DEP_3)
	v_fma_f64 v[120:121], v[188:189], s[14:15], v[184:185]
	v_fma_f64 v[184:185], v[188:189], s[16:17], v[184:185]
	;; [unrolled: 1-line block ×4, first 2 shown]
	s_delay_alu instid0(VALU_DEP_4) | instskip(NEXT) | instid1(VALU_DEP_4)
	v_fma_f64 v[120:121], v[190:191], s[2:3], v[120:121]
	v_fma_f64 v[184:185], v[190:191], s[8:9], v[184:185]
	s_delay_alu instid0(VALU_DEP_4) | instskip(NEXT) | instid1(VALU_DEP_4)
	v_fma_f64 v[122:123], v[194:195], s[8:9], v[122:123]
	v_fma_f64 v[186:187], v[194:195], s[2:3], v[186:187]
	;; [unrolled: 3-line block ×3, first 2 shown]
	v_add_f64_e32 v[184:185], v[136:137], v[138:139]
	v_fma_f64 v[122:123], v[126:127], s[18:19], v[122:123]
	v_fma_f64 v[126:127], v[126:127], s[18:19], v[186:187]
	v_add_f64_e32 v[186:187], v[128:129], v[140:141]
	s_delay_alu instid0(VALU_DEP_4) | instskip(SKIP_1) | instid1(VALU_DEP_3)
	v_fma_f64 v[184:185], v[184:185], -0.5, v[144:145]
	v_add_f64_e32 v[144:145], v[144:145], v[136:137]
	v_fma_f64 v[186:187], v[186:187], -0.5, v[146:147]
	v_add_f64_e32 v[146:147], v[146:147], v[128:129]
	v_add_f64_e64 v[128:129], v[132:133], -v[128:129]
	s_delay_alu instid0(VALU_DEP_4) | instskip(NEXT) | instid1(VALU_DEP_4)
	v_add_f64_e32 v[136:137], v[144:145], v[142:143]
	v_fma_f64 v[144:145], v[194:195], s[16:17], v[186:187]
	s_delay_alu instid0(VALU_DEP_4) | instskip(NEXT) | instid1(VALU_DEP_3)
	v_add_f64_e32 v[142:143], v[146:147], v[132:133]
	v_add_f64_e32 v[132:133], v[136:137], v[134:135]
	v_add_f64_e64 v[134:135], v[134:135], -v[138:139]
	s_delay_alu instid0(VALU_DEP_3) | instskip(SKIP_1) | instid1(VALU_DEP_4)
	v_add_f64_e32 v[142:143], v[142:143], v[130:131]
	v_add_f64_e64 v[130:131], v[130:131], -v[140:141]
	v_add_f64_e32 v[136:137], v[132:133], v[138:139]
	v_fma_f64 v[132:133], v[190:191], s[16:17], v[184:185]
	v_add_f64_e32 v[134:135], v[216:217], v[134:135]
	v_add_f64_e64 v[216:217], v[152:153], -v[182:183]
	v_add_f64_e32 v[138:139], v[142:143], v[140:141]
	v_fma_f64 v[140:141], v[190:191], s[14:15], v[184:185]
	v_fma_f64 v[142:143], v[194:195], s[14:15], v[186:187]
	v_add_f64_e32 v[146:147], v[128:129], v[130:131]
	v_fma_f64 v[128:129], v[188:189], s[2:3], v[132:133]
	ds_load_b128 v[184:187], v196 offset:1760
	v_add_f64_e64 v[194:195], v[154:155], -v[150:151]
	v_fma_f64 v[132:133], v[188:189], s[8:9], v[140:141]
	v_fma_f64 v[140:141], v[192:193], s[2:3], v[144:145]
	v_fma_f64 v[130:131], v[192:193], s[8:9], v[142:143]
	v_fma_f64 v[128:129], v[134:135], s[18:19], v[128:129]
	v_add_f64_e64 v[142:143], v[182:183], -v[156:157]
	v_add_f64_e64 v[192:193], v[148:149], -v[180:181]
	v_fma_f64 v[132:133], v[134:135], s[18:19], v[132:133]
	v_fma_f64 v[134:135], v[146:147], s[18:19], v[140:141]
	v_add_f64_e64 v[140:141], v[152:153], -v[158:159]
	v_fma_f64 v[130:131], v[146:147], s[18:19], v[130:131]
	s_delay_alu instid0(VALU_DEP_2) | instskip(SKIP_2) | instid1(VALU_DEP_1)
	v_add_f64_e32 v[144:145], v[140:141], v[142:143]
	v_add_f64_e64 v[140:141], v[148:149], -v[154:155]
	v_add_f64_e64 v[142:143], v[180:181], -v[150:151]
	v_add_f64_e32 v[146:147], v[140:141], v[142:143]
	v_add_f64_e32 v[140:141], v[158:159], v[156:157]
	s_wait_dscnt 0x0
	s_delay_alu instid0(VALU_DEP_1) | instskip(SKIP_1) | instid1(VALU_DEP_1)
	v_fma_f64 v[188:189], v[140:141], -0.5, v[184:185]
	v_add_f64_e32 v[140:141], v[154:155], v[150:151]
	v_fma_f64 v[190:191], v[140:141], -0.5, v[186:187]
	s_delay_alu instid0(VALU_DEP_3) | instskip(SKIP_1) | instid1(VALU_DEP_3)
	v_fma_f64 v[140:141], v[192:193], s[14:15], v[188:189]
	v_fma_f64 v[188:189], v[192:193], s[16:17], v[188:189]
	;; [unrolled: 1-line block ×4, first 2 shown]
	s_delay_alu instid0(VALU_DEP_4) | instskip(NEXT) | instid1(VALU_DEP_4)
	v_fma_f64 v[140:141], v[194:195], s[2:3], v[140:141]
	v_fma_f64 v[188:189], v[194:195], s[8:9], v[188:189]
	s_delay_alu instid0(VALU_DEP_4) | instskip(NEXT) | instid1(VALU_DEP_4)
	v_fma_f64 v[142:143], v[218:219], s[8:9], v[142:143]
	v_fma_f64 v[190:191], v[218:219], s[2:3], v[190:191]
	;; [unrolled: 3-line block ×3, first 2 shown]
	v_add_f64_e32 v[188:189], v[152:153], v[182:183]
	v_fma_f64 v[142:143], v[146:147], s[18:19], v[142:143]
	v_fma_f64 v[146:147], v[146:147], s[18:19], v[190:191]
	v_add_f64_e32 v[190:191], v[148:149], v[180:181]
	s_delay_alu instid0(VALU_DEP_4) | instskip(SKIP_2) | instid1(VALU_DEP_4)
	v_fma_f64 v[188:189], v[188:189], -0.5, v[184:185]
	v_add_f64_e32 v[184:185], v[184:185], v[152:153]
	v_add_f64_e64 v[152:153], v[158:159], -v[152:153]
	v_fma_f64 v[190:191], v[190:191], -0.5, v[186:187]
	v_add_f64_e32 v[186:187], v[186:187], v[148:149]
	v_add_f64_e64 v[148:149], v[154:155], -v[148:149]
	v_add_f64_e32 v[158:159], v[184:185], v[158:159]
	s_delay_alu instid0(VALU_DEP_3) | instskip(SKIP_1) | instid1(VALU_DEP_3)
	v_add_f64_e32 v[184:185], v[186:187], v[154:155]
	v_fma_f64 v[186:187], v[218:219], s[16:17], v[190:191]
	v_add_f64_e32 v[154:155], v[158:159], v[156:157]
	s_delay_alu instid0(VALU_DEP_3) | instskip(SKIP_1) | instid1(VALU_DEP_3)
	v_add_f64_e32 v[158:159], v[184:185], v[150:151]
	v_add_f64_e64 v[184:185], v[156:157], -v[182:183]
	v_add_f64_e32 v[156:157], v[154:155], v[182:183]
	v_add_f64_e64 v[150:151], v[150:151], -v[180:181]
	v_fma_f64 v[154:155], v[194:195], s[16:17], v[188:189]
	v_fma_f64 v[182:183], v[218:219], s[14:15], v[190:191]
	v_add_f64_e64 v[218:219], v[96:97], -v[90:91]
	v_add_f64_e32 v[158:159], v[158:159], v[180:181]
	v_fma_f64 v[180:181], v[194:195], s[14:15], v[188:189]
	v_add_f64_e32 v[152:153], v[152:153], v[184:185]
	v_add_f64_e32 v[184:185], v[148:149], v[150:151]
	v_fma_f64 v[148:149], v[192:193], s[2:3], v[154:155]
	v_fma_f64 v[150:151], v[216:217], s[8:9], v[182:183]
	v_add_f64_e64 v[182:183], v[178:179], -v[172:173]
	v_fma_f64 v[154:155], v[192:193], s[8:9], v[180:181]
	v_fma_f64 v[180:181], v[216:217], s[2:3], v[186:187]
	v_add_f64_e64 v[216:217], v[88:89], -v[174:175]
	v_fma_f64 v[148:149], v[152:153], s[18:19], v[148:149]
	v_fma_f64 v[150:151], v[184:185], s[18:19], v[150:151]
	;; [unrolled: 1-line block ×4, first 2 shown]
	v_add_f64_e64 v[180:181], v[98:99], -v[176:177]
	v_add_f64_e32 v[184:185], v[176:177], v[172:173]
	s_delay_alu instid0(VALU_DEP_2) | instskip(SKIP_2) | instid1(VALU_DEP_1)
	v_add_f64_e32 v[188:189], v[180:181], v[182:183]
	v_add_f64_e64 v[180:181], v[88:89], -v[96:97]
	v_add_f64_e64 v[182:183], v[174:175], -v[90:91]
	v_add_f64_e32 v[190:191], v[180:181], v[182:183]
	ds_load_b128 v[180:183], v196 offset:2640
	s_wait_dscnt 0x0
	v_fma_f64 v[192:193], v[184:185], -0.5, v[180:181]
	v_add_f64_e32 v[184:185], v[96:97], v[90:91]
	s_delay_alu instid0(VALU_DEP_1) | instskip(NEXT) | instid1(VALU_DEP_3)
	v_fma_f64 v[194:195], v[184:185], -0.5, v[182:183]
	v_fma_f64 v[184:185], v[216:217], s[14:15], v[192:193]
	v_fma_f64 v[192:193], v[216:217], s[16:17], v[192:193]
	s_delay_alu instid0(VALU_DEP_3) | instskip(SKIP_1) | instid1(VALU_DEP_4)
	v_fma_f64 v[186:187], v[220:221], s[16:17], v[194:195]
	v_fma_f64 v[194:195], v[220:221], s[14:15], v[194:195]
	;; [unrolled: 1-line block ×3, first 2 shown]
	s_delay_alu instid0(VALU_DEP_4) | instskip(NEXT) | instid1(VALU_DEP_4)
	v_fma_f64 v[192:193], v[218:219], s[8:9], v[192:193]
	v_fma_f64 v[186:187], v[222:223], s[8:9], v[186:187]
	s_delay_alu instid0(VALU_DEP_4) | instskip(NEXT) | instid1(VALU_DEP_4)
	v_fma_f64 v[194:195], v[222:223], s[2:3], v[194:195]
	v_fma_f64 v[184:185], v[188:189], s[18:19], v[184:185]
	s_delay_alu instid0(VALU_DEP_4) | instskip(SKIP_4) | instid1(VALU_DEP_4)
	v_fma_f64 v[188:189], v[188:189], s[18:19], v[192:193]
	v_add_f64_e32 v[192:193], v[98:99], v[178:179]
	v_fma_f64 v[186:187], v[190:191], s[18:19], v[186:187]
	v_fma_f64 v[190:191], v[190:191], s[18:19], v[194:195]
	v_add_f64_e32 v[194:195], v[88:89], v[174:175]
	v_fma_f64 v[192:193], v[192:193], -0.5, v[180:181]
	v_add_f64_e32 v[180:181], v[180:181], v[98:99]
	v_add_f64_e64 v[98:99], v[176:177], -v[98:99]
	s_delay_alu instid0(VALU_DEP_4) | instskip(SKIP_3) | instid1(VALU_DEP_3)
	v_fma_f64 v[194:195], v[194:195], -0.5, v[182:183]
	v_add_f64_e32 v[182:183], v[182:183], v[88:89]
	v_add_f64_e64 v[88:89], v[96:97], -v[88:89]
	v_add_f64_e32 v[176:177], v[180:181], v[176:177]
	v_add_f64_e32 v[180:181], v[182:183], v[96:97]
	v_fma_f64 v[182:183], v[222:223], s[16:17], v[194:195]
	s_delay_alu instid0(VALU_DEP_3) | instskip(SKIP_1) | instid1(VALU_DEP_4)
	v_add_f64_e32 v[96:97], v[176:177], v[172:173]
	v_add_f64_e64 v[172:173], v[172:173], -v[178:179]
	v_add_f64_e32 v[180:181], v[180:181], v[90:91]
	v_add_f64_e64 v[90:91], v[90:91], -v[174:175]
	s_delay_alu instid0(VALU_DEP_4)
	v_add_f64_e32 v[176:177], v[96:97], v[178:179]
	v_fma_f64 v[96:97], v[218:219], s[16:17], v[192:193]
	v_add_f64_e32 v[98:99], v[98:99], v[172:173]
	v_fma_f64 v[182:183], v[220:221], s[2:3], v[182:183]
	;; [unrolled: 2-line block ×3, first 2 shown]
	v_fma_f64 v[180:181], v[222:223], s[14:15], v[194:195]
	v_add_f64_e32 v[88:89], v[88:89], v[90:91]
	v_fma_f64 v[90:91], v[216:217], s[2:3], v[96:97]
	ds_load_b128 v[192:195], v196 offset:3520
	v_add_f64_e64 v[222:223], v[92:93], -v[170:171]
	v_fma_f64 v[96:97], v[216:217], s[8:9], v[174:175]
	v_fma_f64 v[174:175], v[220:221], s[8:9], v[180:181]
	;; [unrolled: 1-line block ×4, first 2 shown]
	v_add_f64_e64 v[90:91], v[166:167], -v[168:169]
	v_add_f64_e64 v[220:221], v[162:163], -v[164:165]
	v_fma_f64 v[180:181], v[98:99], s[18:19], v[96:97]
	v_fma_f64 v[174:175], v[88:89], s[18:19], v[174:175]
	v_add_f64_e64 v[88:89], v[160:161], -v[94:95]
	s_delay_alu instid0(VALU_DEP_1) | instskip(SKIP_2) | instid1(VALU_DEP_1)
	v_add_f64_e32 v[96:97], v[88:89], v[90:91]
	v_add_f64_e64 v[88:89], v[162:163], -v[92:93]
	v_add_f64_e64 v[90:91], v[164:165], -v[170:171]
	v_add_f64_e32 v[98:99], v[88:89], v[90:91]
	v_add_f64_e32 v[88:89], v[94:95], v[168:169]
	s_wait_dscnt 0x0
	s_delay_alu instid0(VALU_DEP_1) | instskip(SKIP_1) | instid1(VALU_DEP_1)
	v_fma_f64 v[216:217], v[88:89], -0.5, v[192:193]
	v_add_f64_e32 v[88:89], v[92:93], v[170:171]
	v_fma_f64 v[218:219], v[88:89], -0.5, v[194:195]
	s_delay_alu instid0(VALU_DEP_3) | instskip(SKIP_1) | instid1(VALU_DEP_3)
	v_fma_f64 v[88:89], v[220:221], s[16:17], v[216:217]
	v_fma_f64 v[216:217], v[220:221], s[14:15], v[216:217]
	;; [unrolled: 1-line block ×4, first 2 shown]
	s_delay_alu instid0(VALU_DEP_4) | instskip(NEXT) | instid1(VALU_DEP_4)
	v_fma_f64 v[88:89], v[222:223], s[2:3], v[88:89]
	v_fma_f64 v[216:217], v[222:223], s[8:9], v[216:217]
	s_delay_alu instid0(VALU_DEP_4) | instskip(NEXT) | instid1(VALU_DEP_4)
	v_fma_f64 v[90:91], v[226:227], s[8:9], v[90:91]
	v_fma_f64 v[218:219], v[226:227], s[2:3], v[218:219]
	;; [unrolled: 3-line block ×3, first 2 shown]
	v_add_f64_e32 v[216:217], v[160:161], v[166:167]
	v_fma_f64 v[90:91], v[98:99], s[18:19], v[90:91]
	v_fma_f64 v[98:99], v[98:99], s[18:19], v[218:219]
	v_add_f64_e32 v[218:219], v[162:163], v[164:165]
	s_delay_alu instid0(VALU_DEP_4) | instskip(SKIP_2) | instid1(VALU_DEP_4)
	v_fma_f64 v[216:217], v[216:217], -0.5, v[192:193]
	v_add_f64_e32 v[192:193], v[192:193], v[94:95]
	v_add_f64_e64 v[94:95], v[94:95], -v[160:161]
	v_fma_f64 v[218:219], v[218:219], -0.5, v[194:195]
	v_add_f64_e32 v[194:195], v[194:195], v[92:93]
	v_add_f64_e64 v[92:93], v[92:93], -v[162:163]
	v_add_f64_e32 v[160:161], v[192:193], v[160:161]
	s_delay_alu instid0(VALU_DEP_3) | instskip(SKIP_1) | instid1(VALU_DEP_3)
	v_add_f64_e32 v[192:193], v[194:195], v[162:163]
	v_fma_f64 v[194:195], v[226:227], s[14:15], v[218:219]
	v_add_f64_e32 v[160:161], v[160:161], v[166:167]
	v_add_f64_e64 v[166:167], v[168:169], -v[166:167]
	s_delay_alu instid0(VALU_DEP_4) | instskip(SKIP_1) | instid1(VALU_DEP_4)
	v_add_f64_e32 v[162:163], v[192:193], v[164:165]
	v_add_f64_e64 v[164:165], v[170:171], -v[164:165]
	v_add_f64_e32 v[160:161], v[160:161], v[168:169]
	v_fma_f64 v[168:169], v[222:223], s[14:15], v[216:217]
	v_fma_f64 v[192:193], v[226:227], s[16:17], v[218:219]
	v_add_f64_e32 v[94:95], v[94:95], v[166:167]
	v_add_f64_e32 v[162:163], v[162:163], v[170:171]
	v_fma_f64 v[170:171], v[222:223], s[16:17], v[216:217]
	v_add_f64_e32 v[216:217], v[92:93], v[164:165]
	v_fma_f64 v[92:93], v[220:221], s[2:3], v[168:169]
	v_fma_f64 v[166:167], v[224:225], s[8:9], v[192:193]
	s_delay_alu instid0(VALU_DEP_4) | instskip(SKIP_1) | instid1(VALU_DEP_4)
	v_fma_f64 v[168:169], v[220:221], s[8:9], v[170:171]
	v_fma_f64 v[170:171], v[224:225], s[2:3], v[194:195]
	;; [unrolled: 1-line block ×3, first 2 shown]
	s_delay_alu instid0(VALU_DEP_4) | instskip(NEXT) | instid1(VALU_DEP_4)
	v_fma_f64 v[166:167], v[216:217], s[18:19], v[166:167]
	v_fma_f64 v[92:93], v[94:95], s[18:19], v[168:169]
	s_delay_alu instid0(VALU_DEP_4)
	v_fma_f64 v[94:95], v[216:217], s[18:19], v[170:171]
	ds_store_b128 v196, v[116:119]
	ds_store_b128 v196, v[136:139] offset:880
	ds_store_b128 v196, v[156:159] offset:1760
	;; [unrolled: 1-line block ×24, first 2 shown]
	global_wb scope:SCOPE_SE
	s_wait_dscnt 0x0
	s_barrier_signal -1
	s_barrier_wait -1
	global_inv scope:SCOPE_SE
	scratch_load_b64 v[100:101], off, off   ; 8-byte Folded Reload
	ds_load_b128 v[106:109], v196
	ds_load_b128 v[110:113], v196 offset:2000
	ds_load_b128 v[114:117], v196 offset:4000
	ds_load_b128 v[118:121], v196 offset:6000
	ds_load_b128 v[122:125], v196 offset:8000
	ds_load_b128 v[172:175], v196 offset:8880
	ds_load_b128 v[126:129], v196 offset:10000
	ds_load_b128 v[178:181], v196 offset:10880
	ds_load_b128 v[130:133], v196 offset:12000
	ds_load_b128 v[184:187], v196 offset:12880
	ds_load_b128 v[134:137], v196 offset:14000
	ds_load_b128 v[190:193], v196 offset:14880
	ds_load_b128 v[138:141], v196 offset:16000
	ds_load_b128 v[216:219], v196 offset:16880
	ds_load_b128 v[142:145], v196 offset:18000
	ds_load_b128 v[220:223], v196 offset:18880
	ds_load_b128 v[146:149], v196 offset:20000
	ds_load_b128 v[224:227], v196 offset:20880
	ds_load_b128 v[160:163], v196 offset:4880
	ds_load_b128 v[166:169], v196 offset:6880
	s_wait_loadcnt 0x0
	global_load_b128 v[102:105], v[100:101], off offset:22000
	s_wait_loadcnt_dscnt 0x13
	v_mul_f64_e32 v[100:101], v[108:109], v[104:105]
	v_mul_f64_e32 v[104:105], v[106:107], v[104:105]
	s_delay_alu instid0(VALU_DEP_2) | instskip(NEXT) | instid1(VALU_DEP_2)
	v_fma_f64 v[100:101], v[106:107], v[102:103], -v[100:101]
	v_fma_f64 v[102:103], v[108:109], v[102:103], v[104:105]
	global_load_b128 v[106:109], v196, s[0:1] offset:2000
	s_wait_loadcnt_dscnt 0x12
	v_mul_f64_e32 v[104:105], v[112:113], v[108:109]
	v_mul_f64_e32 v[108:109], v[110:111], v[108:109]
	s_delay_alu instid0(VALU_DEP_2) | instskip(NEXT) | instid1(VALU_DEP_2)
	v_fma_f64 v[104:105], v[110:111], v[106:107], -v[104:105]
	v_fma_f64 v[106:107], v[112:113], v[106:107], v[108:109]
	global_load_b128 v[110:113], v196, s[0:1] offset:4000
	s_wait_loadcnt_dscnt 0x11
	v_mul_f64_e32 v[108:109], v[116:117], v[112:113]
	v_mul_f64_e32 v[112:113], v[114:115], v[112:113]
	s_delay_alu instid0(VALU_DEP_2) | instskip(NEXT) | instid1(VALU_DEP_2)
	v_fma_f64 v[108:109], v[114:115], v[110:111], -v[108:109]
	v_fma_f64 v[110:111], v[116:117], v[110:111], v[112:113]
	global_load_b128 v[114:117], v196, s[0:1] offset:6000
	s_wait_loadcnt_dscnt 0x10
	v_mul_f64_e32 v[112:113], v[120:121], v[116:117]
	v_mul_f64_e32 v[116:117], v[118:119], v[116:117]
	s_delay_alu instid0(VALU_DEP_2) | instskip(NEXT) | instid1(VALU_DEP_2)
	v_fma_f64 v[112:113], v[118:119], v[114:115], -v[112:113]
	v_fma_f64 v[114:115], v[120:121], v[114:115], v[116:117]
	global_load_b128 v[118:121], v196, s[0:1] offset:8000
	s_wait_loadcnt_dscnt 0xf
	v_mul_f64_e32 v[116:117], v[124:125], v[120:121]
	v_mul_f64_e32 v[120:121], v[122:123], v[120:121]
	s_delay_alu instid0(VALU_DEP_2) | instskip(NEXT) | instid1(VALU_DEP_2)
	v_fma_f64 v[116:117], v[122:123], v[118:119], -v[116:117]
	v_fma_f64 v[118:119], v[124:125], v[118:119], v[120:121]
	global_load_b128 v[122:125], v196, s[0:1] offset:10000
	s_wait_loadcnt_dscnt 0xd
	v_mul_f64_e32 v[120:121], v[128:129], v[124:125]
	v_mul_f64_e32 v[124:125], v[126:127], v[124:125]
	s_delay_alu instid0(VALU_DEP_2) | instskip(NEXT) | instid1(VALU_DEP_2)
	v_fma_f64 v[120:121], v[126:127], v[122:123], -v[120:121]
	v_fma_f64 v[122:123], v[128:129], v[122:123], v[124:125]
	global_load_b128 v[126:129], v196, s[0:1] offset:12000
	s_wait_loadcnt_dscnt 0xb
	v_mul_f64_e32 v[124:125], v[132:133], v[128:129]
	v_mul_f64_e32 v[128:129], v[130:131], v[128:129]
	s_delay_alu instid0(VALU_DEP_2) | instskip(NEXT) | instid1(VALU_DEP_2)
	v_fma_f64 v[124:125], v[130:131], v[126:127], -v[124:125]
	v_fma_f64 v[126:127], v[132:133], v[126:127], v[128:129]
	global_load_b128 v[130:133], v196, s[0:1] offset:14000
	s_wait_loadcnt_dscnt 0x9
	v_mul_f64_e32 v[128:129], v[136:137], v[132:133]
	v_mul_f64_e32 v[132:133], v[134:135], v[132:133]
	s_delay_alu instid0(VALU_DEP_2) | instskip(NEXT) | instid1(VALU_DEP_2)
	v_fma_f64 v[128:129], v[134:135], v[130:131], -v[128:129]
	v_fma_f64 v[130:131], v[136:137], v[130:131], v[132:133]
	global_load_b128 v[134:137], v196, s[0:1] offset:16000
	s_wait_loadcnt_dscnt 0x7
	v_mul_f64_e32 v[132:133], v[140:141], v[136:137]
	v_mul_f64_e32 v[136:137], v[138:139], v[136:137]
	s_delay_alu instid0(VALU_DEP_2) | instskip(NEXT) | instid1(VALU_DEP_2)
	v_fma_f64 v[132:133], v[138:139], v[134:135], -v[132:133]
	v_fma_f64 v[134:135], v[140:141], v[134:135], v[136:137]
	global_load_b128 v[138:141], v196, s[0:1] offset:18000
	s_wait_loadcnt_dscnt 0x5
	v_mul_f64_e32 v[136:137], v[144:145], v[140:141]
	v_mul_f64_e32 v[140:141], v[142:143], v[140:141]
	s_delay_alu instid0(VALU_DEP_2) | instskip(NEXT) | instid1(VALU_DEP_2)
	v_fma_f64 v[136:137], v[142:143], v[138:139], -v[136:137]
	v_fma_f64 v[138:139], v[144:145], v[138:139], v[140:141]
	global_load_b128 v[142:145], v196, s[0:1] offset:20000
	s_wait_loadcnt_dscnt 0x3
	v_mul_f64_e32 v[140:141], v[148:149], v[144:145]
	v_mul_f64_e32 v[144:145], v[146:147], v[144:145]
	s_delay_alu instid0(VALU_DEP_2) | instskip(NEXT) | instid1(VALU_DEP_2)
	v_fma_f64 v[140:141], v[146:147], v[142:143], -v[140:141]
	v_fma_f64 v[142:143], v[148:149], v[142:143], v[144:145]
	global_load_b128 v[144:147], v196, s[0:1] offset:880
	ds_load_b128 v[148:151], v196 offset:880
	s_wait_loadcnt_dscnt 0x0
	v_mul_f64_e32 v[152:153], v[150:151], v[146:147]
	v_mul_f64_e32 v[154:155], v[148:149], v[146:147]
	s_delay_alu instid0(VALU_DEP_2) | instskip(NEXT) | instid1(VALU_DEP_2)
	v_fma_f64 v[146:147], v[148:149], v[144:145], -v[152:153]
	v_fma_f64 v[148:149], v[150:151], v[144:145], v[154:155]
	global_load_b128 v[150:153], v196, s[0:1] offset:2880
	ds_load_b128 v[154:157], v196 offset:2880
	s_wait_loadcnt_dscnt 0x0
	v_mul_f64_e32 v[144:145], v[156:157], v[152:153]
	v_mul_f64_e32 v[158:159], v[154:155], v[152:153]
	s_delay_alu instid0(VALU_DEP_2) | instskip(NEXT) | instid1(VALU_DEP_2)
	v_fma_f64 v[152:153], v[154:155], v[150:151], -v[144:145]
	v_fma_f64 v[154:155], v[156:157], v[150:151], v[158:159]
	global_load_b128 v[156:159], v196, s[0:1] offset:4880
	s_wait_loadcnt 0x0
	v_mul_f64_e32 v[144:145], v[162:163], v[158:159]
	v_mul_f64_e32 v[150:151], v[160:161], v[158:159]
	s_delay_alu instid0(VALU_DEP_2) | instskip(NEXT) | instid1(VALU_DEP_2)
	v_fma_f64 v[158:159], v[160:161], v[156:157], -v[144:145]
	v_fma_f64 v[160:161], v[162:163], v[156:157], v[150:151]
	global_load_b128 v[162:165], v196, s[0:1] offset:6880
	s_wait_loadcnt 0x0
	;; [unrolled: 7-line block ×9, first 2 shown]
	v_mul_f64_e32 v[144:145], v[226:227], v[194:195]
	v_mul_f64_e32 v[150:151], v[224:225], v[194:195]
	s_delay_alu instid0(VALU_DEP_2) | instskip(NEXT) | instid1(VALU_DEP_2)
	v_fma_f64 v[224:225], v[224:225], v[192:193], -v[144:145]
	v_fma_f64 v[226:227], v[226:227], v[192:193], v[150:151]
	ds_store_b128 v196, v[100:103]
	ds_store_b128 v196, v[104:107] offset:2000
	ds_store_b128 v196, v[108:111] offset:4000
	;; [unrolled: 1-line block ×21, first 2 shown]
	s_and_saveexec_b32 s2, vcc_lo
	s_cbranch_execz .LBB0_9
; %bb.8:
	s_wait_alu 0xfffe
	v_add_co_u32 v148, s0, s0, v196
	s_wait_alu 0xf1ff
	v_add_co_ci_u32_e64 v149, null, s1, 0, s0
	s_clause 0x8
	global_load_b128 v[100:103], v[148:149], off offset:1760
	global_load_b128 v[104:107], v[148:149], off offset:3760
	;; [unrolled: 1-line block ×9, first 2 shown]
	ds_load_b128 v[136:139], v196 offset:1760
	ds_load_b128 v[140:143], v196 offset:3760
	global_load_b128 v[144:147], v[148:149], off offset:19760
	s_wait_loadcnt_dscnt 0x901
	v_mul_f64_e32 v[150:151], v[138:139], v[102:103]
	v_mul_f64_e32 v[102:103], v[136:137], v[102:103]
	s_wait_loadcnt_dscnt 0x800
	v_mul_f64_e32 v[152:153], v[142:143], v[106:107]
	v_mul_f64_e32 v[106:107], v[140:141], v[106:107]
	s_delay_alu instid0(VALU_DEP_4)
	v_fma_f64 v[136:137], v[136:137], v[100:101], -v[150:151]
	global_load_b128 v[148:151], v[148:149], off offset:21760
	v_fma_f64 v[138:139], v[138:139], v[100:101], v[102:103]
	ds_load_b128 v[100:103], v196 offset:5760
	v_fma_f64 v[140:141], v[140:141], v[104:105], -v[152:153]
	v_fma_f64 v[142:143], v[142:143], v[104:105], v[106:107]
	ds_load_b128 v[104:107], v196 offset:7760
	s_wait_loadcnt_dscnt 0x801
	v_mul_f64_e32 v[154:155], v[102:103], v[110:111]
	v_mul_f64_e32 v[110:111], v[100:101], v[110:111]
	s_wait_loadcnt_dscnt 0x700
	v_mul_f64_e32 v[152:153], v[106:107], v[114:115]
	v_mul_f64_e32 v[114:115], v[104:105], v[114:115]
	s_delay_alu instid0(VALU_DEP_4) | instskip(NEXT) | instid1(VALU_DEP_4)
	v_fma_f64 v[100:101], v[100:101], v[108:109], -v[154:155]
	v_fma_f64 v[102:103], v[102:103], v[108:109], v[110:111]
	ds_load_b128 v[108:111], v196 offset:9760
	v_fma_f64 v[104:105], v[104:105], v[112:113], -v[152:153]
	v_fma_f64 v[106:107], v[106:107], v[112:113], v[114:115]
	ds_load_b128 v[112:115], v196 offset:11760
	s_wait_loadcnt_dscnt 0x601
	v_mul_f64_e32 v[154:155], v[110:111], v[118:119]
	v_mul_f64_e32 v[118:119], v[108:109], v[118:119]
	s_wait_loadcnt_dscnt 0x500
	v_mul_f64_e32 v[152:153], v[114:115], v[122:123]
	v_mul_f64_e32 v[122:123], v[112:113], v[122:123]
	s_delay_alu instid0(VALU_DEP_4) | instskip(NEXT) | instid1(VALU_DEP_4)
	v_fma_f64 v[108:109], v[108:109], v[116:117], -v[154:155]
	;; [unrolled: 13-line block ×4, first 2 shown]
	v_fma_f64 v[126:127], v[126:127], v[132:133], v[134:135]
	ds_load_b128 v[132:135], v196 offset:21760
	v_fma_f64 v[128:129], v[128:129], v[144:145], -v[152:153]
	v_fma_f64 v[130:131], v[130:131], v[144:145], v[146:147]
	s_wait_loadcnt_dscnt 0x0
	v_mul_f64_e32 v[154:155], v[134:135], v[150:151]
	v_mul_f64_e32 v[144:145], v[132:133], v[150:151]
	s_delay_alu instid0(VALU_DEP_2) | instskip(NEXT) | instid1(VALU_DEP_2)
	v_fma_f64 v[132:133], v[132:133], v[148:149], -v[154:155]
	v_fma_f64 v[134:135], v[134:135], v[148:149], v[144:145]
	ds_store_b128 v196, v[136:139] offset:1760
	ds_store_b128 v196, v[140:143] offset:3760
	;; [unrolled: 1-line block ×11, first 2 shown]
.LBB0_9:
	s_wait_alu 0xfffe
	s_or_b32 exec_lo, exec_lo, s2
	global_wb scope:SCOPE_SE
	s_wait_dscnt 0x0
	s_barrier_signal -1
	s_barrier_wait -1
	global_inv scope:SCOPE_SE
	ds_load_b128 v[132:135], v196
	ds_load_b128 v[168:171], v196 offset:880
	ds_load_b128 v[144:147], v196 offset:2000
	;; [unrolled: 1-line block ×21, first 2 shown]
	s_and_saveexec_b32 s0, vcc_lo
	s_cbranch_execz .LBB0_11
; %bb.10:
	ds_load_b128 v[88:91], v196 offset:1760
	ds_load_b128 v[96:99], v196 offset:3760
	;; [unrolled: 1-line block ×4, first 2 shown]
	s_wait_dscnt 0x0
	scratch_store_b128 off, v[188:191], off offset:56 ; 16-byte Folded Spill
	ds_load_b128 v[188:191], v196 offset:9760
	s_wait_dscnt 0x0
	scratch_store_b128 off, v[188:191], off offset:72 ; 16-byte Folded Spill
	ds_load_b128 v[188:191], v196 offset:11760
	;; [unrolled: 3-line block ×7, first 2 shown]
	s_wait_dscnt 0x0
	scratch_store_b128 off, v[188:191], off offset:8 ; 16-byte Folded Spill
.LBB0_11:
	s_wait_alu 0xfffe
	s_or_b32 exec_lo, exec_lo, s0
	s_wait_dscnt 0x13
	v_add_f64_e32 v[188:189], v[132:133], v[144:145]
	v_add_f64_e32 v[190:191], v[134:135], v[146:147]
	s_mov_b32 s16, 0x8eee2c13
	s_mov_b32 s18, 0x43842ef
	;; [unrolled: 1-line block ×20, first 2 shown]
	s_wait_alu 0xfffe
	s_mov_b32 s30, s16
	s_mov_b32 s29, 0x3fefac9e
	s_mov_b32 s28, s18
	s_mov_b32 s37, 0x3fe82f19
	s_mov_b32 s36, s20
	s_mov_b32 s35, 0x3fd207e7
	s_mov_b32 s34, s22
	s_wait_dscnt 0x11
	s_delay_alu instid0(VALU_DEP_2) | instskip(NEXT) | instid1(VALU_DEP_2)
	v_add_f64_e32 v[188:189], v[188:189], v[136:137]
	v_add_f64_e32 v[190:191], v[190:191], v[138:139]
	s_wait_dscnt 0xf
	s_delay_alu instid0(VALU_DEP_2) | instskip(NEXT) | instid1(VALU_DEP_2)
	v_add_f64_e32 v[188:189], v[188:189], v[124:125]
	v_add_f64_e32 v[190:191], v[190:191], v[126:127]
	;; [unrolled: 4-line block ×9, first 2 shown]
	scratch_store_b128 off, v[188:191], off offset:960 ; 16-byte Folded Spill
	v_add_f64_e32 v[190:191], v[146:147], v[150:151]
	v_add_f64_e64 v[146:147], v[146:147], -v[150:151]
	v_add_f64_e32 v[188:189], v[144:145], v[148:149]
	v_add_f64_e64 v[144:145], v[144:145], -v[148:149]
	global_wb scope:SCOPE_SE
	s_wait_storecnt_dscnt 0x0
	s_barrier_signal -1
	s_barrier_wait -1
	global_inv scope:SCOPE_SE
	v_mul_f64_e32 v[192:193], s[0:1], v[190:191]
	v_mul_f64_e32 v[148:149], s[26:27], v[146:147]
	;; [unrolled: 1-line block ×10, first 2 shown]
	v_fma_f64 v[194:195], v[144:145], s[24:25], v[192:193]
	v_fma_f64 v[150:151], v[188:189], s[0:1], v[148:149]
	v_fma_f64 v[148:149], v[188:189], s[0:1], -v[148:149]
	v_fma_f64 v[218:219], v[188:189], s[2:3], v[216:217]
	v_fma_f64 v[216:217], v[188:189], s[2:3], -v[216:217]
	;; [unrolled: 2-line block ×5, first 2 shown]
	v_fma_f64 v[192:193], v[144:145], s[26:27], v[192:193]
	s_wait_alu 0xfffe
	v_fma_f64 v[222:223], v[144:145], s[30:31], v[220:221]
	v_fma_f64 v[220:221], v[144:145], s[16:17], v[220:221]
	;; [unrolled: 1-line block ×8, first 2 shown]
	v_add_f64_e32 v[194:195], v[134:135], v[194:195]
	v_add_f64_e32 v[150:151], v[132:133], v[150:151]
	;; [unrolled: 1-line block ×12, first 2 shown]
	v_add_f64_e64 v[138:139], v[138:139], -v[142:143]
	v_add_f64_e32 v[192:193], v[134:135], v[192:193]
	v_add_f64_e32 v[222:223], v[134:135], v[222:223]
	;; [unrolled: 1-line block ×10, first 2 shown]
	v_add_f64_e64 v[136:137], v[136:137], -v[140:141]
	v_mul_f64_e32 v[140:141], s[16:17], v[138:139]
	s_delay_alu instid0(VALU_DEP_1) | instskip(SKIP_1) | instid1(VALU_DEP_2)
	v_fma_f64 v[142:143], v[144:145], s[2:3], v[140:141]
	v_fma_f64 v[140:141], v[144:145], s[2:3], -v[140:141]
	v_add_f64_e32 v[142:143], v[142:143], v[150:151]
	v_mul_f64_e32 v[150:151], s[2:3], v[146:147]
	s_delay_alu instid0(VALU_DEP_3) | instskip(NEXT) | instid1(VALU_DEP_2)
	v_add_f64_e32 v[140:141], v[140:141], v[148:149]
	v_fma_f64 v[188:189], v[136:137], s[30:31], v[150:151]
	v_fma_f64 v[148:149], v[136:137], s[16:17], v[150:151]
	v_mul_f64_e32 v[150:151], s[20:21], v[138:139]
	s_delay_alu instid0(VALU_DEP_3) | instskip(NEXT) | instid1(VALU_DEP_3)
	v_add_f64_e32 v[188:189], v[188:189], v[194:195]
	v_add_f64_e32 v[148:149], v[148:149], v[192:193]
	s_delay_alu instid0(VALU_DEP_3) | instskip(SKIP_2) | instid1(VALU_DEP_3)
	v_fma_f64 v[190:191], v[144:145], s[12:13], v[150:151]
	v_fma_f64 v[150:151], v[144:145], s[12:13], -v[150:151]
	v_mul_f64_e32 v[192:193], s[12:13], v[146:147]
	v_add_f64_e32 v[190:191], v[190:191], v[218:219]
	s_delay_alu instid0(VALU_DEP_3) | instskip(SKIP_1) | instid1(VALU_DEP_4)
	v_add_f64_e32 v[150:151], v[150:151], v[216:217]
	v_mul_f64_e32 v[216:217], s[34:35], v[138:139]
	v_fma_f64 v[194:195], v[136:137], s[36:37], v[192:193]
	v_fma_f64 v[192:193], v[136:137], s[20:21], v[192:193]
	s_delay_alu instid0(VALU_DEP_3) | instskip(SKIP_1) | instid1(VALU_DEP_3)
	v_fma_f64 v[218:219], v[144:145], s[14:15], v[216:217]
	v_fma_f64 v[216:217], v[144:145], s[14:15], -v[216:217]
	v_add_f64_e32 v[192:193], v[192:193], v[220:221]
	v_mul_f64_e32 v[220:221], s[14:15], v[146:147]
	v_add_f64_e32 v[194:195], v[194:195], v[222:223]
	v_add_f64_e32 v[218:219], v[218:219], v[226:227]
	;; [unrolled: 1-line block ×3, first 2 shown]
	v_mul_f64_e32 v[224:225], s[28:29], v[138:139]
	v_fma_f64 v[222:223], v[136:137], s[22:23], v[220:221]
	v_fma_f64 v[220:221], v[136:137], s[34:35], v[220:221]
	v_mul_f64_e32 v[138:139], s[24:25], v[138:139]
	s_delay_alu instid0(VALU_DEP_4) | instskip(SKIP_1) | instid1(VALU_DEP_4)
	v_fma_f64 v[226:227], v[144:145], s[8:9], v[224:225]
	v_fma_f64 v[224:225], v[144:145], s[8:9], -v[224:225]
	v_add_f64_e32 v[220:221], v[220:221], v[228:229]
	v_mul_f64_e32 v[228:229], s[8:9], v[146:147]
	v_mul_f64_e32 v[146:147], s[0:1], v[146:147]
	v_add_f64_e32 v[222:223], v[222:223], v[230:231]
	v_add_f64_e32 v[226:227], v[226:227], v[234:235]
	;; [unrolled: 1-line block ×3, first 2 shown]
	v_fma_f64 v[232:233], v[144:145], s[0:1], v[138:139]
	v_fma_f64 v[138:139], v[144:145], s[0:1], -v[138:139]
	v_fma_f64 v[230:231], v[136:137], s[18:19], v[228:229]
	v_fma_f64 v[228:229], v[136:137], s[28:29], v[228:229]
	v_fma_f64 v[234:235], v[136:137], s[26:27], v[146:147]
	v_fma_f64 v[136:137], v[136:137], s[24:25], v[146:147]
	v_add_f64_e32 v[232:233], v[232:233], v[240:241]
	v_add_f64_e32 v[132:133], v[138:139], v[132:133]
	;; [unrolled: 1-line block ×3, first 2 shown]
	v_add_f64_e64 v[126:127], v[126:127], -v[130:131]
	v_add_f64_e32 v[230:231], v[230:231], v[238:239]
	v_add_f64_e32 v[134:135], v[136:137], v[134:135]
	;; [unrolled: 1-line block ×3, first 2 shown]
	v_add_f64_e64 v[124:125], v[124:125], -v[128:129]
	v_add_f64_e64 v[238:239], v[118:119], -v[122:123]
	v_add_f64_e32 v[228:229], v[228:229], v[236:237]
	v_add_f64_e64 v[236:237], v[116:117], -v[120:121]
	v_add_f64_e32 v[234:235], v[234:235], v[242:243]
	v_mul_f64_e32 v[128:129], s[18:19], v[126:127]
	s_delay_alu instid0(VALU_DEP_1) | instskip(SKIP_1) | instid1(VALU_DEP_2)
	v_fma_f64 v[130:131], v[136:137], s[8:9], v[128:129]
	v_fma_f64 v[128:129], v[136:137], s[8:9], -v[128:129]
	v_add_f64_e32 v[130:131], v[130:131], v[142:143]
	v_mul_f64_e32 v[142:143], s[8:9], v[138:139]
	s_delay_alu instid0(VALU_DEP_3) | instskip(NEXT) | instid1(VALU_DEP_2)
	v_add_f64_e32 v[128:129], v[128:129], v[140:141]
	v_fma_f64 v[144:145], v[124:125], s[28:29], v[142:143]
	v_fma_f64 v[140:141], v[124:125], s[18:19], v[142:143]
	v_mul_f64_e32 v[142:143], s[34:35], v[126:127]
	s_delay_alu instid0(VALU_DEP_3) | instskip(NEXT) | instid1(VALU_DEP_3)
	v_add_f64_e32 v[144:145], v[144:145], v[188:189]
	v_add_f64_e32 v[140:141], v[140:141], v[148:149]
	s_delay_alu instid0(VALU_DEP_3) | instskip(SKIP_2) | instid1(VALU_DEP_3)
	v_fma_f64 v[146:147], v[136:137], s[14:15], v[142:143]
	v_fma_f64 v[142:143], v[136:137], s[14:15], -v[142:143]
	v_mul_f64_e32 v[148:149], s[14:15], v[138:139]
	v_add_f64_e32 v[146:147], v[146:147], v[190:191]
	s_delay_alu instid0(VALU_DEP_3) | instskip(SKIP_1) | instid1(VALU_DEP_4)
	v_add_f64_e32 v[142:143], v[142:143], v[150:151]
	v_mul_f64_e32 v[150:151], s[30:31], v[126:127]
	v_fma_f64 v[188:189], v[124:125], s[22:23], v[148:149]
	v_fma_f64 v[148:149], v[124:125], s[34:35], v[148:149]
	s_delay_alu instid0(VALU_DEP_3) | instskip(SKIP_1) | instid1(VALU_DEP_3)
	v_fma_f64 v[190:191], v[136:137], s[2:3], v[150:151]
	v_fma_f64 v[150:151], v[136:137], s[2:3], -v[150:151]
	v_add_f64_e32 v[148:149], v[148:149], v[192:193]
	v_mul_f64_e32 v[192:193], s[2:3], v[138:139]
	v_add_f64_e32 v[188:189], v[188:189], v[194:195]
	v_add_f64_e32 v[190:191], v[190:191], v[218:219]
	;; [unrolled: 1-line block ×3, first 2 shown]
	v_mul_f64_e32 v[216:217], s[26:27], v[126:127]
	v_mul_f64_e32 v[126:127], s[20:21], v[126:127]
	v_fma_f64 v[194:195], v[124:125], s[16:17], v[192:193]
	v_fma_f64 v[192:193], v[124:125], s[30:31], v[192:193]
	s_delay_alu instid0(VALU_DEP_4) | instskip(SKIP_1) | instid1(VALU_DEP_4)
	v_fma_f64 v[218:219], v[136:137], s[0:1], v[216:217]
	v_fma_f64 v[216:217], v[136:137], s[0:1], -v[216:217]
	v_add_f64_e32 v[194:195], v[194:195], v[222:223]
	s_delay_alu instid0(VALU_DEP_4)
	v_add_f64_e32 v[192:193], v[192:193], v[220:221]
	v_mul_f64_e32 v[220:221], s[0:1], v[138:139]
	v_mul_f64_e32 v[138:139], s[12:13], v[138:139]
	v_add_f64_e32 v[218:219], v[218:219], v[226:227]
	v_add_f64_e32 v[216:217], v[216:217], v[224:225]
	v_fma_f64 v[224:225], v[136:137], s[12:13], v[126:127]
	v_fma_f64 v[126:127], v[136:137], s[12:13], -v[126:127]
	v_fma_f64 v[222:223], v[124:125], s[24:25], v[220:221]
	v_fma_f64 v[226:227], v[124:125], s[36:37], v[138:139]
	;; [unrolled: 1-line block ×4, first 2 shown]
	v_add_f64_e32 v[224:225], v[224:225], v[232:233]
	v_add_f64_e32 v[232:233], v[116:117], v[120:121]
	v_mul_f64_e32 v[120:121], s[20:21], v[238:239]
	v_add_f64_e32 v[226:227], v[226:227], v[234:235]
	v_add_f64_e32 v[234:235], v[118:119], v[122:123]
	;; [unrolled: 1-line block ×6, first 2 shown]
	v_fma_f64 v[116:117], v[232:233], s[12:13], v[120:121]
	v_fma_f64 v[120:121], v[232:233], s[12:13], -v[120:121]
	v_mul_f64_e32 v[122:123], s[12:13], v[234:235]
	s_delay_alu instid0(VALU_DEP_3) | instskip(NEXT) | instid1(VALU_DEP_3)
	v_add_f64_e32 v[116:117], v[116:117], v[130:131]
	v_add_f64_e32 v[120:121], v[120:121], v[128:129]
	v_mul_f64_e32 v[128:129], s[28:29], v[238:239]
	v_mul_f64_e32 v[130:131], s[8:9], v[234:235]
	v_fma_f64 v[118:119], v[236:237], s[36:37], v[122:123]
	v_fma_f64 v[122:123], v[236:237], s[20:21], v[122:123]
	s_delay_alu instid0(VALU_DEP_4) | instskip(SKIP_2) | instid1(VALU_DEP_4)
	v_fma_f64 v[124:125], v[232:233], s[8:9], v[128:129]
	v_fma_f64 v[128:129], v[232:233], s[8:9], -v[128:129]
	v_fma_f64 v[126:127], v[236:237], s[18:19], v[130:131]
	v_add_f64_e32 v[122:123], v[122:123], v[140:141]
	v_add_f64_e32 v[118:119], v[118:119], v[144:145]
	;; [unrolled: 1-line block ×4, first 2 shown]
	v_fma_f64 v[128:129], v[236:237], s[28:29], v[130:131]
	v_add_f64_e32 v[126:127], v[126:127], v[188:189]
	s_delay_alu instid0(VALU_DEP_2) | instskip(SKIP_1) | instid1(VALU_DEP_1)
	v_add_f64_e32 v[134:135], v[128:129], v[148:149]
	v_mul_f64_e32 v[128:129], s[26:27], v[238:239]
	v_fma_f64 v[130:131], v[232:233], s[0:1], v[128:129]
	v_fma_f64 v[128:129], v[232:233], s[0:1], -v[128:129]
	s_delay_alu instid0(VALU_DEP_2) | instskip(SKIP_1) | instid1(VALU_DEP_3)
	v_add_f64_e32 v[136:137], v[130:131], v[190:191]
	v_mul_f64_e32 v[130:131], s[0:1], v[234:235]
	v_add_f64_e32 v[140:141], v[128:129], v[150:151]
	s_delay_alu instid0(VALU_DEP_2) | instskip(SKIP_1) | instid1(VALU_DEP_2)
	v_fma_f64 v[128:129], v[236:237], s[26:27], v[130:131]
	v_fma_f64 v[138:139], v[236:237], s[24:25], v[130:131]
	v_add_f64_e32 v[142:143], v[128:129], v[192:193]
	v_mul_f64_e32 v[128:129], s[22:23], v[238:239]
	s_delay_alu instid0(VALU_DEP_3) | instskip(NEXT) | instid1(VALU_DEP_2)
	v_add_f64_e32 v[138:139], v[138:139], v[194:195]
	v_fma_f64 v[130:131], v[232:233], s[14:15], v[128:129]
	v_fma_f64 v[128:129], v[232:233], s[14:15], -v[128:129]
	s_delay_alu instid0(VALU_DEP_2) | instskip(SKIP_1) | instid1(VALU_DEP_3)
	v_add_f64_e32 v[144:145], v[130:131], v[218:219]
	v_mul_f64_e32 v[130:131], s[14:15], v[234:235]
	v_add_f64_e32 v[148:149], v[128:129], v[216:217]
	v_add_f64_e32 v[216:217], v[100:101], v[112:113]
	;; [unrolled: 1-line block ×3, first 2 shown]
	s_delay_alu instid0(VALU_DEP_4) | instskip(SKIP_1) | instid1(VALU_DEP_2)
	v_fma_f64 v[146:147], v[236:237], s[34:35], v[130:131]
	v_fma_f64 v[128:129], v[236:237], s[22:23], v[130:131]
	v_add_f64_e32 v[146:147], v[146:147], v[222:223]
	v_add_f64_e64 v[222:223], v[102:103], -v[114:115]
	s_delay_alu instid0(VALU_DEP_3) | instskip(SKIP_4) | instid1(VALU_DEP_4)
	v_add_f64_e32 v[150:151], v[128:129], v[220:221]
	v_mul_f64_e32 v[128:129], s[30:31], v[238:239]
	v_add_f64_e64 v[220:221], v[100:101], -v[112:113]
	v_mul_f64_e32 v[114:115], s[14:15], v[218:219]
	v_mul_f64_e32 v[112:113], s[22:23], v[222:223]
	v_fma_f64 v[130:131], v[232:233], s[2:3], v[128:129]
	v_fma_f64 v[128:129], v[232:233], s[2:3], -v[128:129]
	s_delay_alu instid0(VALU_DEP_4)
	v_fma_f64 v[102:103], v[220:221], s[34:35], v[114:115]
	v_fma_f64 v[114:115], v[220:221], s[22:23], v[114:115]
	;; [unrolled: 1-line block ×3, first 2 shown]
	v_fma_f64 v[112:113], v[216:217], s[14:15], -v[112:113]
	v_add_f64_e32 v[188:189], v[130:131], v[224:225]
	v_mul_f64_e32 v[130:131], s[2:3], v[234:235]
	v_add_f64_e32 v[192:193], v[128:129], v[228:229]
	v_add_f64_e32 v[102:103], v[102:103], v[118:119]
	;; [unrolled: 1-line block ×4, first 2 shown]
	v_mul_f64_e32 v[116:117], s[24:25], v[222:223]
	v_add_f64_e32 v[112:113], v[112:113], v[120:121]
	v_fma_f64 v[128:129], v[236:237], s[30:31], v[130:131]
	v_fma_f64 v[190:191], v[236:237], s[16:17], v[130:131]
	s_delay_alu instid0(VALU_DEP_4) | instskip(SKIP_1) | instid1(VALU_DEP_4)
	v_fma_f64 v[118:119], v[216:217], s[0:1], v[116:117]
	v_fma_f64 v[116:117], v[216:217], s[0:1], -v[116:117]
	v_add_f64_e32 v[194:195], v[128:129], v[230:231]
	s_delay_alu instid0(VALU_DEP_4) | instskip(NEXT) | instid1(VALU_DEP_4)
	v_add_f64_e32 v[190:191], v[190:191], v[226:227]
	v_add_f64_e32 v[128:129], v[118:119], v[124:125]
	v_mul_f64_e32 v[118:119], s[0:1], v[218:219]
	v_add_f64_e32 v[116:117], v[116:117], v[132:133]
	s_delay_alu instid0(VALU_DEP_2) | instskip(SKIP_1) | instid1(VALU_DEP_2)
	v_fma_f64 v[120:121], v[220:221], s[26:27], v[118:119]
	v_fma_f64 v[118:119], v[220:221], s[24:25], v[118:119]
	v_add_f64_e32 v[130:131], v[120:121], v[126:127]
	v_mul_f64_e32 v[120:121], s[20:21], v[222:223]
	s_delay_alu instid0(VALU_DEP_3) | instskip(NEXT) | instid1(VALU_DEP_2)
	v_add_f64_e32 v[118:119], v[118:119], v[134:135]
	v_fma_f64 v[122:123], v[216:217], s[12:13], v[120:121]
	v_fma_f64 v[120:121], v[216:217], s[12:13], -v[120:121]
	s_delay_alu instid0(VALU_DEP_2) | instskip(SKIP_1) | instid1(VALU_DEP_3)
	v_add_f64_e32 v[132:133], v[122:123], v[136:137]
	v_mul_f64_e32 v[122:123], s[12:13], v[218:219]
	v_add_f64_e32 v[120:121], v[120:121], v[140:141]
	v_mul_f64_e32 v[140:141], s[18:19], v[222:223]
	s_delay_alu instid0(VALU_DEP_3) | instskip(SKIP_1) | instid1(VALU_DEP_2)
	v_fma_f64 v[124:125], v[220:221], s[36:37], v[122:123]
	v_fma_f64 v[122:123], v[220:221], s[20:21], v[122:123]
	v_add_f64_e32 v[134:135], v[124:125], v[138:139]
	v_mul_f64_e32 v[124:125], s[30:31], v[222:223]
	s_delay_alu instid0(VALU_DEP_3) | instskip(SKIP_2) | instid1(VALU_DEP_4)
	v_add_f64_e32 v[122:123], v[122:123], v[142:143]
	v_fma_f64 v[142:143], v[216:217], s[8:9], v[140:141]
	v_fma_f64 v[140:141], v[216:217], s[8:9], -v[140:141]
	v_fma_f64 v[126:127], v[216:217], s[2:3], v[124:125]
	v_fma_f64 v[124:125], v[216:217], s[2:3], -v[124:125]
	s_delay_alu instid0(VALU_DEP_3) | instskip(NEXT) | instid1(VALU_DEP_3)
	v_add_f64_e32 v[140:141], v[140:141], v[192:193]
	v_add_f64_e32 v[136:137], v[126:127], v[144:145]
	v_mul_f64_e32 v[126:127], s[2:3], v[218:219]
	s_delay_alu instid0(VALU_DEP_4)
	v_add_f64_e32 v[124:125], v[124:125], v[148:149]
	v_add_f64_e32 v[148:149], v[168:169], v[180:181]
	;; [unrolled: 1-line block ×3, first 2 shown]
	v_mul_f64_e32 v[142:143], s[8:9], v[218:219]
	v_add_f64_e32 v[188:189], v[180:181], v[184:185]
	v_add_f64_e64 v[180:181], v[180:181], -v[184:185]
	v_fma_f64 v[138:139], v[220:221], s[16:17], v[126:127]
	v_fma_f64 v[126:127], v[220:221], s[30:31], v[126:127]
	v_add_f64_e32 v[148:149], v[148:149], v[172:173]
	s_delay_alu instid0(VALU_DEP_3) | instskip(NEXT) | instid1(VALU_DEP_3)
	v_add_f64_e32 v[138:139], v[138:139], v[146:147]
	v_add_f64_e32 v[126:127], v[126:127], v[150:151]
	;; [unrolled: 1-line block ×3, first 2 shown]
	s_delay_alu instid0(VALU_DEP_4) | instskip(SKIP_2) | instid1(VALU_DEP_4)
	v_add_f64_e32 v[148:149], v[148:149], v[160:161]
	v_fma_f64 v[146:147], v[220:221], s[28:29], v[142:143]
	v_fma_f64 v[142:143], v[220:221], s[18:19], v[142:143]
	v_add_f64_e32 v[150:151], v[150:151], v[174:175]
	s_delay_alu instid0(VALU_DEP_4) | instskip(NEXT) | instid1(VALU_DEP_4)
	v_add_f64_e32 v[148:149], v[148:149], v[152:153]
	v_add_f64_e32 v[146:147], v[146:147], v[190:191]
	;; [unrolled: 1-line block ×3, first 2 shown]
	v_add_f64_e64 v[182:183], v[182:183], -v[186:187]
	v_add_f64_e32 v[142:143], v[142:143], v[194:195]
	v_add_f64_e32 v[150:151], v[150:151], v[162:163]
	v_add_f64_e32 v[148:149], v[148:149], v[104:105]
	v_mul_f64_e32 v[192:193], s[0:1], v[190:191]
	v_mul_f64_e32 v[216:217], s[16:17], v[182:183]
	;; [unrolled: 1-line block ×8, first 2 shown]
	v_add_f64_e32 v[150:151], v[150:151], v[154:155]
	v_add_f64_e32 v[148:149], v[148:149], v[108:109]
	v_fma_f64 v[194:195], v[180:181], s[24:25], v[192:193]
	v_fma_f64 v[218:219], v[188:189], s[2:3], v[216:217]
	v_fma_f64 v[216:217], v[188:189], s[2:3], -v[216:217]
	v_fma_f64 v[226:227], v[188:189], s[8:9], v[224:225]
	v_fma_f64 v[224:225], v[188:189], s[8:9], -v[224:225]
	;; [unrolled: 2-line block ×3, first 2 shown]
	v_fma_f64 v[192:193], v[180:181], s[26:27], v[192:193]
	v_fma_f64 v[222:223], v[180:181], s[30:31], v[220:221]
	;; [unrolled: 1-line block ×9, first 2 shown]
	v_add_f64_e32 v[150:151], v[150:151], v[106:107]
	v_add_f64_e32 v[148:149], v[148:149], v[156:157]
	;; [unrolled: 1-line block ×19, first 2 shown]
	v_add_f64_e64 v[172:173], v[172:173], -v[176:177]
	v_add_f64_e32 v[150:151], v[150:151], v[110:111]
	v_add_f64_e32 v[148:149], v[148:149], v[164:165]
	s_delay_alu instid0(VALU_DEP_2) | instskip(NEXT) | instid1(VALU_DEP_2)
	v_add_f64_e32 v[150:151], v[150:151], v[158:159]
	v_add_f64_e32 v[148:149], v[148:149], v[176:177]
	s_delay_alu instid0(VALU_DEP_2) | instskip(NEXT) | instid1(VALU_DEP_2)
	v_add_f64_e32 v[150:151], v[150:151], v[166:167]
	v_add_f64_e32 v[148:149], v[148:149], v[184:185]
	v_mul_f64_e32 v[184:185], s[26:27], v[182:183]
	v_mul_f64_e32 v[182:183], s[22:23], v[182:183]
	s_delay_alu instid0(VALU_DEP_4) | instskip(NEXT) | instid1(VALU_DEP_2)
	v_add_f64_e32 v[150:151], v[150:151], v[178:179]
	v_fma_f64 v[240:241], v[188:189], s[14:15], v[182:183]
	v_fma_f64 v[182:183], v[188:189], s[14:15], -v[182:183]
	s_delay_alu instid0(VALU_DEP_3) | instskip(SKIP_3) | instid1(VALU_DEP_3)
	v_add_f64_e32 v[150:151], v[150:151], v[186:187]
	v_fma_f64 v[186:187], v[188:189], s[0:1], v[184:185]
	v_fma_f64 v[184:185], v[188:189], s[0:1], -v[184:185]
	v_add_f64_e32 v[240:241], v[168:169], v[240:241]
	v_add_f64_e32 v[186:187], v[168:169], v[186:187]
	s_delay_alu instid0(VALU_DEP_3) | instskip(SKIP_3) | instid1(VALU_DEP_1)
	v_add_f64_e32 v[184:185], v[168:169], v[184:185]
	v_add_f64_e32 v[168:169], v[168:169], v[182:183]
	;; [unrolled: 1-line block ×3, first 2 shown]
	v_add_f64_e64 v[174:175], v[174:175], -v[178:179]
	v_mul_f64_e32 v[176:177], s[16:17], v[174:175]
	s_delay_alu instid0(VALU_DEP_1) | instskip(SKIP_1) | instid1(VALU_DEP_2)
	v_fma_f64 v[178:179], v[180:181], s[2:3], v[176:177]
	v_fma_f64 v[176:177], v[180:181], s[2:3], -v[176:177]
	v_add_f64_e32 v[178:179], v[178:179], v[186:187]
	v_mul_f64_e32 v[186:187], s[2:3], v[182:183]
	s_delay_alu instid0(VALU_DEP_3) | instskip(NEXT) | instid1(VALU_DEP_2)
	v_add_f64_e32 v[176:177], v[176:177], v[184:185]
	v_fma_f64 v[188:189], v[172:173], s[30:31], v[186:187]
	v_fma_f64 v[184:185], v[172:173], s[16:17], v[186:187]
	v_mul_f64_e32 v[186:187], s[20:21], v[174:175]
	s_delay_alu instid0(VALU_DEP_3) | instskip(NEXT) | instid1(VALU_DEP_3)
	v_add_f64_e32 v[188:189], v[188:189], v[194:195]
	v_add_f64_e32 v[184:185], v[184:185], v[192:193]
	s_delay_alu instid0(VALU_DEP_3) | instskip(SKIP_2) | instid1(VALU_DEP_3)
	v_fma_f64 v[190:191], v[180:181], s[12:13], v[186:187]
	v_fma_f64 v[186:187], v[180:181], s[12:13], -v[186:187]
	v_mul_f64_e32 v[192:193], s[12:13], v[182:183]
	v_add_f64_e32 v[190:191], v[190:191], v[218:219]
	s_delay_alu instid0(VALU_DEP_3) | instskip(SKIP_1) | instid1(VALU_DEP_4)
	v_add_f64_e32 v[186:187], v[186:187], v[216:217]
	v_mul_f64_e32 v[216:217], s[34:35], v[174:175]
	v_fma_f64 v[194:195], v[172:173], s[36:37], v[192:193]
	v_fma_f64 v[192:193], v[172:173], s[20:21], v[192:193]
	s_delay_alu instid0(VALU_DEP_3) | instskip(SKIP_1) | instid1(VALU_DEP_3)
	v_fma_f64 v[218:219], v[180:181], s[14:15], v[216:217]
	v_fma_f64 v[216:217], v[180:181], s[14:15], -v[216:217]
	v_add_f64_e32 v[192:193], v[192:193], v[220:221]
	v_mul_f64_e32 v[220:221], s[14:15], v[182:183]
	v_add_f64_e32 v[194:195], v[194:195], v[222:223]
	v_add_f64_e32 v[218:219], v[218:219], v[226:227]
	;; [unrolled: 1-line block ×3, first 2 shown]
	v_mul_f64_e32 v[224:225], s[28:29], v[174:175]
	v_fma_f64 v[222:223], v[172:173], s[22:23], v[220:221]
	v_fma_f64 v[220:221], v[172:173], s[34:35], v[220:221]
	v_mul_f64_e32 v[174:175], s[24:25], v[174:175]
	s_delay_alu instid0(VALU_DEP_4) | instskip(SKIP_1) | instid1(VALU_DEP_4)
	v_fma_f64 v[226:227], v[180:181], s[8:9], v[224:225]
	v_fma_f64 v[224:225], v[180:181], s[8:9], -v[224:225]
	v_add_f64_e32 v[220:221], v[220:221], v[228:229]
	v_mul_f64_e32 v[228:229], s[8:9], v[182:183]
	v_mul_f64_e32 v[182:183], s[0:1], v[182:183]
	v_add_f64_e32 v[222:223], v[222:223], v[230:231]
	v_add_f64_e32 v[226:227], v[226:227], v[234:235]
	;; [unrolled: 1-line block ×3, first 2 shown]
	v_fma_f64 v[232:233], v[180:181], s[0:1], v[174:175]
	v_fma_f64 v[174:175], v[180:181], s[0:1], -v[174:175]
	v_fma_f64 v[230:231], v[172:173], s[18:19], v[228:229]
	v_fma_f64 v[228:229], v[172:173], s[28:29], v[228:229]
	v_fma_f64 v[234:235], v[172:173], s[26:27], v[182:183]
	v_fma_f64 v[172:173], v[172:173], s[24:25], v[182:183]
	v_add_f64_e32 v[232:233], v[232:233], v[240:241]
	v_add_f64_e32 v[168:169], v[174:175], v[168:169]
	;; [unrolled: 1-line block ×3, first 2 shown]
	v_add_f64_e64 v[162:163], v[162:163], -v[166:167]
	v_add_f64_e32 v[228:229], v[228:229], v[236:237]
	v_add_f64_e32 v[170:171], v[172:173], v[170:171]
	;; [unrolled: 1-line block ×3, first 2 shown]
	v_add_f64_e64 v[160:161], v[160:161], -v[164:165]
	v_add_f64_e32 v[236:237], v[152:153], v[156:157]
	v_add_f64_e64 v[240:241], v[152:153], -v[156:157]
	v_add_f64_e64 v[156:157], v[154:155], -v[158:159]
	v_add_f64_e32 v[230:231], v[230:231], v[238:239]
	v_add_f64_e32 v[238:239], v[154:155], v[158:159]
	;; [unrolled: 1-line block ×3, first 2 shown]
	v_mul_f64_e32 v[164:165], s[18:19], v[162:163]
	v_mul_f64_e32 v[154:155], s[20:21], v[156:157]
	s_delay_alu instid0(VALU_DEP_4) | instskip(NEXT) | instid1(VALU_DEP_3)
	v_mul_f64_e32 v[158:159], s[12:13], v[238:239]
	v_fma_f64 v[166:167], v[172:173], s[8:9], v[164:165]
	v_fma_f64 v[164:165], v[172:173], s[8:9], -v[164:165]
	s_delay_alu instid0(VALU_DEP_4) | instskip(SKIP_1) | instid1(VALU_DEP_4)
	v_fma_f64 v[152:153], v[236:237], s[12:13], v[154:155]
	v_fma_f64 v[154:155], v[236:237], s[12:13], -v[154:155]
	v_add_f64_e32 v[166:167], v[166:167], v[178:179]
	v_mul_f64_e32 v[178:179], s[8:9], v[174:175]
	v_add_f64_e32 v[164:165], v[164:165], v[176:177]
	s_delay_alu instid0(VALU_DEP_3) | instskip(NEXT) | instid1(VALU_DEP_3)
	v_add_f64_e32 v[152:153], v[152:153], v[166:167]
	v_fma_f64 v[176:177], v[160:161], s[18:19], v[178:179]
	v_fma_f64 v[180:181], v[160:161], s[28:29], v[178:179]
	v_mul_f64_e32 v[178:179], s[34:35], v[162:163]
	s_delay_alu instid0(VALU_DEP_3) | instskip(SKIP_1) | instid1(VALU_DEP_4)
	v_add_f64_e32 v[176:177], v[176:177], v[184:185]
	v_mul_f64_e32 v[184:185], s[14:15], v[174:175]
	v_add_f64_e32 v[180:181], v[180:181], v[188:189]
	s_delay_alu instid0(VALU_DEP_4) | instskip(SKIP_1) | instid1(VALU_DEP_4)
	v_fma_f64 v[182:183], v[172:173], s[14:15], v[178:179]
	v_fma_f64 v[178:179], v[172:173], s[14:15], -v[178:179]
	v_fma_f64 v[188:189], v[160:161], s[22:23], v[184:185]
	v_fma_f64 v[184:185], v[160:161], s[34:35], v[184:185]
	s_delay_alu instid0(VALU_DEP_4) | instskip(NEXT) | instid1(VALU_DEP_4)
	v_add_f64_e32 v[182:183], v[182:183], v[190:191]
	v_add_f64_e32 v[178:179], v[178:179], v[186:187]
	s_delay_alu instid0(VALU_DEP_4) | instskip(NEXT) | instid1(VALU_DEP_4)
	v_add_f64_e32 v[188:189], v[188:189], v[194:195]
	v_add_f64_e32 v[190:191], v[184:185], v[192:193]
	v_mul_f64_e32 v[184:185], s[30:31], v[162:163]
	s_delay_alu instid0(VALU_DEP_1) | instskip(SKIP_1) | instid1(VALU_DEP_2)
	v_fma_f64 v[186:187], v[172:173], s[2:3], v[184:185]
	v_fma_f64 v[184:185], v[172:173], s[2:3], -v[184:185]
	v_add_f64_e32 v[192:193], v[186:187], v[218:219]
	v_mul_f64_e32 v[186:187], s[2:3], v[174:175]
	s_delay_alu instid0(VALU_DEP_3) | instskip(NEXT) | instid1(VALU_DEP_2)
	v_add_f64_e32 v[216:217], v[184:185], v[216:217]
	v_fma_f64 v[184:185], v[160:161], s[30:31], v[186:187]
	v_fma_f64 v[194:195], v[160:161], s[16:17], v[186:187]
	s_delay_alu instid0(VALU_DEP_2) | instskip(SKIP_2) | instid1(VALU_DEP_4)
	v_add_f64_e32 v[218:219], v[184:185], v[220:221]
	v_mul_f64_e32 v[184:185], s[26:27], v[162:163]
	v_mul_f64_e32 v[162:163], s[20:21], v[162:163]
	v_add_f64_e32 v[194:195], v[194:195], v[222:223]
	s_delay_alu instid0(VALU_DEP_3) | instskip(SKIP_1) | instid1(VALU_DEP_2)
	v_fma_f64 v[186:187], v[172:173], s[0:1], v[184:185]
	v_fma_f64 v[184:185], v[172:173], s[0:1], -v[184:185]
	v_add_f64_e32 v[220:221], v[186:187], v[226:227]
	v_mul_f64_e32 v[186:187], s[0:1], v[174:175]
	s_delay_alu instid0(VALU_DEP_3) | instskip(SKIP_1) | instid1(VALU_DEP_3)
	v_add_f64_e32 v[224:225], v[184:185], v[224:225]
	v_mul_f64_e32 v[174:175], s[12:13], v[174:175]
	v_fma_f64 v[184:185], v[160:161], s[26:27], v[186:187]
	v_fma_f64 v[222:223], v[160:161], s[24:25], v[186:187]
	v_add_f64_e32 v[186:187], v[154:155], v[164:165]
	v_fma_f64 v[154:155], v[240:241], s[20:21], v[158:159]
	s_delay_alu instid0(VALU_DEP_4) | instskip(SKIP_4) | instid1(VALU_DEP_4)
	v_add_f64_e32 v[226:227], v[184:185], v[228:229]
	v_fma_f64 v[184:185], v[172:173], s[12:13], v[162:163]
	v_add_f64_e32 v[222:223], v[222:223], v[230:231]
	v_fma_f64 v[162:163], v[172:173], s[12:13], -v[162:163]
	v_add_f64_e32 v[154:155], v[154:155], v[176:177]
	v_add_f64_e32 v[228:229], v[184:185], v[232:233]
	v_fma_f64 v[184:185], v[160:161], s[36:37], v[174:175]
	v_fma_f64 v[160:161], v[160:161], s[20:21], v[174:175]
	v_add_f64_e32 v[232:233], v[162:163], v[168:169]
	s_delay_alu instid0(VALU_DEP_3) | instskip(NEXT) | instid1(VALU_DEP_3)
	v_add_f64_e32 v[230:231], v[184:185], v[234:235]
	v_add_f64_e32 v[234:235], v[160:161], v[170:171]
	v_fma_f64 v[160:161], v[240:241], s[36:37], v[158:159]
	v_mul_f64_e32 v[158:159], s[28:29], v[156:157]
	s_delay_alu instid0(VALU_DEP_2) | instskip(NEXT) | instid1(VALU_DEP_2)
	v_add_f64_e32 v[184:185], v[160:161], v[180:181]
	v_fma_f64 v[160:161], v[236:237], s[8:9], v[158:159]
	v_fma_f64 v[158:159], v[236:237], s[8:9], -v[158:159]
	s_delay_alu instid0(VALU_DEP_2) | instskip(SKIP_1) | instid1(VALU_DEP_3)
	v_add_f64_e32 v[182:183], v[160:161], v[182:183]
	v_mul_f64_e32 v[160:161], s[8:9], v[238:239]
	v_add_f64_e32 v[178:179], v[158:159], v[178:179]
	s_delay_alu instid0(VALU_DEP_2) | instskip(SKIP_1) | instid1(VALU_DEP_2)
	v_fma_f64 v[158:159], v[240:241], s[28:29], v[160:161]
	v_fma_f64 v[162:163], v[240:241], s[18:19], v[160:161]
	v_add_f64_e32 v[176:177], v[158:159], v[190:191]
	v_mul_f64_e32 v[158:159], s[26:27], v[156:157]
	s_delay_alu instid0(VALU_DEP_3) | instskip(SKIP_2) | instid1(VALU_DEP_4)
	v_add_f64_e32 v[180:181], v[162:163], v[188:189]
	v_mul_f64_e32 v[188:189], s[30:31], v[156:157]
	v_mul_f64_e32 v[190:191], s[2:3], v[238:239]
	v_fma_f64 v[160:161], v[236:237], s[0:1], v[158:159]
	v_fma_f64 v[158:159], v[236:237], s[0:1], -v[158:159]
	s_delay_alu instid0(VALU_DEP_2) | instskip(SKIP_1) | instid1(VALU_DEP_3)
	v_add_f64_e32 v[174:175], v[160:161], v[192:193]
	v_mul_f64_e32 v[160:161], s[0:1], v[238:239]
	v_add_f64_e32 v[170:171], v[158:159], v[216:217]
	s_delay_alu instid0(VALU_DEP_2) | instskip(SKIP_1) | instid1(VALU_DEP_2)
	v_fma_f64 v[158:159], v[240:241], s[26:27], v[160:161]
	v_fma_f64 v[162:163], v[240:241], s[24:25], v[160:161]
	v_add_f64_e32 v[168:169], v[158:159], v[218:219]
	v_mul_f64_e32 v[158:159], s[22:23], v[156:157]
	s_delay_alu instid0(VALU_DEP_3) | instskip(SKIP_2) | instid1(VALU_DEP_4)
	v_add_f64_e32 v[172:173], v[162:163], v[194:195]
	v_fma_f64 v[156:157], v[236:237], s[2:3], v[188:189]
	v_fma_f64 v[188:189], v[236:237], s[2:3], -v[188:189]
	v_fma_f64 v[160:161], v[236:237], s[14:15], v[158:159]
	v_fma_f64 v[158:159], v[236:237], s[14:15], -v[158:159]
	s_delay_alu instid0(VALU_DEP_3) | instskip(SKIP_1) | instid1(VALU_DEP_4)
	v_add_f64_e32 v[218:219], v[188:189], v[232:233]
	v_fma_f64 v[188:189], v[240:241], s[30:31], v[190:191]
	v_add_f64_e32 v[166:167], v[160:161], v[220:221]
	v_mul_f64_e32 v[160:161], s[14:15], v[238:239]
	s_delay_alu instid0(VALU_DEP_3) | instskip(SKIP_2) | instid1(VALU_DEP_4)
	v_add_f64_e32 v[216:217], v[188:189], v[234:235]
	v_add_f64_e32 v[188:189], v[104:105], v[108:109]
	v_add_f64_e64 v[104:105], v[104:105], -v[108:109]
	v_fma_f64 v[162:163], v[240:241], s[34:35], v[160:161]
	s_delay_alu instid0(VALU_DEP_1) | instskip(SKIP_2) | instid1(VALU_DEP_1)
	v_add_f64_e32 v[164:165], v[162:163], v[222:223]
	v_add_f64_e32 v[162:163], v[158:159], v[224:225]
	v_fma_f64 v[158:159], v[240:241], s[22:23], v[160:161]
	v_add_f64_e32 v[160:161], v[158:159], v[226:227]
	v_add_f64_e32 v[158:159], v[156:157], v[228:229]
	v_fma_f64 v[156:157], v[240:241], s[16:17], v[190:191]
	v_add_f64_e32 v[190:191], v[106:107], v[110:111]
	v_add_f64_e64 v[106:107], v[106:107], -v[110:111]
	s_delay_alu instid0(VALU_DEP_3) | instskip(NEXT) | instid1(VALU_DEP_3)
	v_add_f64_e32 v[156:157], v[156:157], v[230:231]
	v_mul_f64_e32 v[194:195], s[14:15], v[190:191]
	s_delay_alu instid0(VALU_DEP_3) | instskip(NEXT) | instid1(VALU_DEP_2)
	v_mul_f64_e32 v[192:193], s[22:23], v[106:107]
	v_fma_f64 v[110:111], v[104:105], s[34:35], v[194:195]
	s_delay_alu instid0(VALU_DEP_2) | instskip(NEXT) | instid1(VALU_DEP_2)
	v_fma_f64 v[108:109], v[188:189], s[14:15], v[192:193]
	v_add_f64_e32 v[110:111], v[110:111], v[184:185]
	s_delay_alu instid0(VALU_DEP_2) | instskip(SKIP_3) | instid1(VALU_DEP_3)
	v_add_f64_e32 v[108:109], v[108:109], v[152:153]
	v_fma_f64 v[152:153], v[188:189], s[14:15], -v[192:193]
	v_fma_f64 v[184:185], v[104:105], s[22:23], v[194:195]
	v_mul_f64_e32 v[192:193], s[0:1], v[190:191]
	v_add_f64_e32 v[152:153], v[152:153], v[186:187]
	v_mul_f64_e32 v[186:187], s[24:25], v[106:107]
	s_delay_alu instid0(VALU_DEP_4) | instskip(NEXT) | instid1(VALU_DEP_2)
	v_add_f64_e32 v[154:155], v[184:185], v[154:155]
	v_fma_f64 v[184:185], v[188:189], s[0:1], v[186:187]
	s_delay_alu instid0(VALU_DEP_1) | instskip(SKIP_1) | instid1(VALU_DEP_1)
	v_add_f64_e32 v[182:183], v[184:185], v[182:183]
	v_fma_f64 v[184:185], v[104:105], s[26:27], v[192:193]
	v_add_f64_e32 v[184:185], v[184:185], v[180:181]
	v_fma_f64 v[180:181], v[188:189], s[0:1], -v[186:187]
	v_mul_f64_e32 v[186:187], s[20:21], v[106:107]
	s_delay_alu instid0(VALU_DEP_2) | instskip(SKIP_2) | instid1(VALU_DEP_2)
	v_add_f64_e32 v[178:179], v[180:181], v[178:179]
	v_fma_f64 v[180:181], v[104:105], s[24:25], v[192:193]
	v_mul_f64_e32 v[192:193], s[12:13], v[190:191]
	v_add_f64_e32 v[180:181], v[180:181], v[176:177]
	v_fma_f64 v[176:177], v[188:189], s[12:13], v[186:187]
	s_delay_alu instid0(VALU_DEP_1) | instskip(NEXT) | instid1(VALU_DEP_4)
	v_add_f64_e32 v[174:175], v[176:177], v[174:175]
	v_fma_f64 v[176:177], v[104:105], s[36:37], v[192:193]
	s_delay_alu instid0(VALU_DEP_1) | instskip(SKIP_3) | instid1(VALU_DEP_3)
	v_add_f64_e32 v[176:177], v[176:177], v[172:173]
	v_fma_f64 v[172:173], v[188:189], s[12:13], -v[186:187]
	v_mul_f64_e32 v[186:187], s[30:31], v[106:107]
	v_mul_f64_e32 v[106:107], s[18:19], v[106:107]
	v_add_f64_e32 v[170:171], v[172:173], v[170:171]
	v_fma_f64 v[172:173], v[104:105], s[20:21], v[192:193]
	v_mul_f64_e32 v[192:193], s[2:3], v[190:191]
	v_mul_f64_e32 v[190:191], s[8:9], v[190:191]
	s_delay_alu instid0(VALU_DEP_3) | instskip(SKIP_1) | instid1(VALU_DEP_1)
	v_add_f64_e32 v[172:173], v[172:173], v[168:169]
	v_fma_f64 v[168:169], v[188:189], s[2:3], v[186:187]
	v_add_f64_e32 v[166:167], v[168:169], v[166:167]
	v_fma_f64 v[168:169], v[104:105], s[16:17], v[192:193]
	s_delay_alu instid0(VALU_DEP_1) | instskip(SKIP_1) | instid1(VALU_DEP_1)
	v_add_f64_e32 v[168:169], v[168:169], v[164:165]
	v_fma_f64 v[164:165], v[188:189], s[2:3], -v[186:187]
	v_add_f64_e32 v[162:163], v[164:165], v[162:163]
	v_fma_f64 v[164:165], v[104:105], s[30:31], v[192:193]
	s_delay_alu instid0(VALU_DEP_1) | instskip(SKIP_2) | instid1(VALU_DEP_2)
	v_add_f64_e32 v[164:165], v[164:165], v[160:161]
	v_fma_f64 v[160:161], v[188:189], s[8:9], v[106:107]
	v_fma_f64 v[106:107], v[188:189], s[8:9], -v[106:107]
	v_add_f64_e32 v[158:159], v[160:161], v[158:159]
	v_fma_f64 v[160:161], v[104:105], s[28:29], v[190:191]
	v_fma_f64 v[104:105], v[104:105], s[18:19], v[190:191]
	s_delay_alu instid0(VALU_DEP_4) | instskip(NEXT) | instid1(VALU_DEP_3)
	v_add_f64_e32 v[186:187], v[106:107], v[218:219]
	v_add_f64_e32 v[160:161], v[160:161], v[156:157]
	s_delay_alu instid0(VALU_DEP_3)
	v_add_f64_e32 v[188:189], v[104:105], v[216:217]
	scratch_load_b128 v[104:107], off, off offset:960 th:TH_LOAD_LU ; 16-byte Folded Reload
	s_wait_loadcnt 0x0
	ds_store_b128 v198, v[104:107]
	ds_store_b128 v198, v[100:103] offset:16
	ds_store_b128 v198, v[128:131] offset:32
	;; [unrolled: 1-line block ×10, first 2 shown]
	ds_store_b128 v199, v[148:151]
	ds_store_b128 v199, v[108:111] offset:16
	ds_store_b128 v199, v[182:185] offset:32
	;; [unrolled: 1-line block ×10, first 2 shown]
	s_and_saveexec_b32 s33, vcc_lo
	s_cbranch_execz .LBB0_13
; %bb.12:
	s_clause 0x6
	scratch_load_b128 v[168:171], off, off offset:56 th:TH_LOAD_LU
	scratch_load_b128 v[226:229], off, off offset:40 th:TH_LOAD_LU
	;; [unrolled: 1-line block ×7, first 2 shown]
	v_add_f64_e32 v[100:101], v[90:91], v[98:99]
	v_add_f64_e32 v[102:103], v[88:89], v[96:97]
	s_delay_alu instid0(VALU_DEP_2) | instskip(NEXT) | instid1(VALU_DEP_2)
	v_add_f64_e32 v[100:101], v[100:101], v[94:95]
	v_add_f64_e32 v[102:103], v[102:103], v[92:93]
	s_wait_loadcnt 0x6
	s_delay_alu instid0(VALU_DEP_2) | instskip(NEXT) | instid1(VALU_DEP_2)
	v_add_f64_e32 v[100:101], v[100:101], v[170:171]
	v_add_f64_e32 v[102:103], v[102:103], v[168:169]
	s_wait_loadcnt 0x5
	v_add_f64_e64 v[164:165], v[168:169], -v[226:227]
	v_add_f64_e32 v[166:167], v[170:171], v[228:229]
	s_wait_loadcnt 0x2
	v_add_f64_e64 v[104:105], v[96:97], -v[218:219]
	;; [unrolled: 3-line block ×3, first 2 shown]
	v_add_f64_e32 v[116:117], v[110:111], v[122:123]
	v_add_f64_e32 v[118:119], v[108:109], v[120:121]
	v_add_f64_e64 v[114:115], v[110:111], -v[122:123]
	v_add_f64_e64 v[98:99], v[98:99], -v[220:221]
	v_add_f64_e32 v[96:97], v[96:97], v[218:219]
	v_add_f64_e64 v[172:173], v[92:93], -v[222:223]
	v_add_f64_e32 v[174:175], v[94:95], v[224:225]
	v_add_f64_e32 v[176:177], v[92:93], v[222:223]
	v_add_f64_e64 v[178:179], v[94:95], -v[224:225]
	v_add_f64_e64 v[170:171], v[170:171], -v[228:229]
	v_add_f64_e32 v[168:169], v[168:169], v[226:227]
	v_add_f64_e32 v[100:101], v[100:101], v[158:159]
	v_add_f64_e32 v[102:103], v[102:103], v[156:157]
	v_mul_f64_e32 v[194:195], s[24:25], v[112:113]
	v_mul_f64_e32 v[180:181], s[18:19], v[114:115]
	;; [unrolled: 1-line block ×11, first 2 shown]
	v_add_f64_e32 v[100:101], v[100:101], v[110:111]
	v_add_f64_e32 v[102:103], v[102:103], v[108:109]
	v_mul_f64_e32 v[108:109], s[22:23], v[104:105]
	v_mul_f64_e32 v[110:111], s[20:21], v[104:105]
	v_fma_f64 v[142:143], v[96:97], s[12:13], -v[134:135]
	v_fma_f64 v[134:135], v[96:97], s[12:13], v[134:135]
	v_fma_f64 v[144:145], v[96:97], s[8:9], -v[136:137]
	v_fma_f64 v[136:137], v[96:97], s[8:9], v[136:137]
	v_fma_f64 v[146:147], v[96:97], s[2:3], -v[138:139]
	v_fma_f64 v[138:139], v[96:97], s[2:3], v[138:139]
	v_add_f64_e32 v[100:101], v[100:101], v[122:123]
	v_add_f64_e32 v[102:103], v[102:103], v[120:121]
	v_mul_f64_e32 v[120:121], s[18:19], v[104:105]
	v_mul_f64_e32 v[122:123], s[16:17], v[104:105]
	;; [unrolled: 1-line block ×3, first 2 shown]
	v_fma_f64 v[124:125], v[106:107], s[14:15], v[108:109]
	v_fma_f64 v[108:109], v[106:107], s[14:15], -v[108:109]
	v_fma_f64 v[126:127], v[106:107], s[12:13], v[110:111]
	v_fma_f64 v[110:111], v[106:107], s[12:13], -v[110:111]
	v_add_f64_e32 v[134:135], v[88:89], v[134:135]
	v_add_f64_e32 v[136:137], v[88:89], v[136:137]
	;; [unrolled: 1-line block ×3, first 2 shown]
	v_fma_f64 v[128:129], v[106:107], s[8:9], v[120:121]
	v_fma_f64 v[120:121], v[106:107], s[8:9], -v[120:121]
	v_fma_f64 v[130:131], v[106:107], s[2:3], v[122:123]
	v_fma_f64 v[122:123], v[106:107], s[2:3], -v[122:123]
	;; [unrolled: 2-line block ×3, first 2 shown]
	v_mul_f64_e32 v[106:107], s[22:23], v[98:99]
	v_mul_f64_e32 v[98:99], s[26:27], v[98:99]
	v_add_f64_e32 v[108:109], v[90:91], v[108:109]
	v_add_f64_e32 v[126:127], v[90:91], v[126:127]
	;; [unrolled: 1-line block ×8, first 2 shown]
	v_fma_f64 v[140:141], v[96:97], s[14:15], -v[106:107]
	v_fma_f64 v[106:107], v[96:97], s[14:15], v[106:107]
	v_fma_f64 v[148:149], v[96:97], s[0:1], -v[98:99]
	v_fma_f64 v[96:97], v[96:97], s[0:1], v[98:99]
	v_add_f64_e32 v[98:99], v[90:91], v[124:125]
	v_add_f64_e32 v[124:125], v[88:89], v[140:141]
	v_add_f64_e32 v[106:107], v[88:89], v[106:107]
	v_add_f64_e32 v[140:141], v[88:89], v[142:143]
	v_add_f64_e32 v[142:143], v[88:89], v[144:145]
	v_add_f64_e32 v[144:145], v[88:89], v[146:147]
	v_add_f64_e32 v[146:147], v[88:89], v[148:149]
	v_add_f64_e32 v[148:149], v[90:91], v[104:105]
	v_add_f64_e32 v[150:151], v[88:89], v[96:97]
	scratch_load_b128 v[88:91], off, off offset:88 th:TH_LOAD_LU ; 16-byte Folded Reload
	v_mul_f64_e32 v[96:97], s[20:21], v[164:165]
	s_wait_loadcnt 0x0
	v_add_f64_e64 v[152:153], v[156:157], -v[88:89]
	v_add_f64_e32 v[156:157], v[156:157], v[88:89]
	v_add_f64_e32 v[162:163], v[102:103], v[88:89]
	v_fma_f64 v[88:89], v[174:175], s[0:1], v[92:93]
	v_add_f64_e32 v[154:155], v[158:159], v[90:91]
	v_add_f64_e64 v[158:159], v[158:159], -v[90:91]
	v_add_f64_e32 v[160:161], v[100:101], v[90:91]
	v_fma_f64 v[90:91], v[176:177], s[0:1], -v[94:95]
	v_fma_f64 v[92:93], v[174:175], s[0:1], -v[92:93]
	v_fma_f64 v[94:95], v[176:177], s[0:1], v[94:95]
	v_add_f64_e32 v[162:163], v[162:163], v[226:227]
	v_add_f64_e32 v[88:89], v[88:89], v[98:99]
	v_fma_f64 v[98:99], v[166:167], s[12:13], v[96:97]
	v_fma_f64 v[96:97], v[166:167], s[12:13], -v[96:97]
	v_add_f64_e32 v[160:161], v[160:161], v[228:229]
	v_add_f64_e32 v[90:91], v[90:91], v[124:125]
	;; [unrolled: 1-line block ×4, first 2 shown]
	v_mul_f64_e32 v[124:125], s[18:19], v[112:113]
	v_add_f64_e32 v[88:89], v[98:99], v[88:89]
	v_mul_f64_e32 v[98:99], s[20:21], v[170:171]
	v_add_f64_e32 v[92:93], v[96:97], v[92:93]
	s_delay_alu instid0(VALU_DEP_2) | instskip(SKIP_2) | instid1(VALU_DEP_3)
	v_fma_f64 v[100:101], v[168:169], s[12:13], -v[98:99]
	v_fma_f64 v[96:97], v[168:169], s[12:13], v[98:99]
	v_fma_f64 v[98:99], v[118:119], s[8:9], v[180:181]
	v_add_f64_e32 v[90:91], v[100:101], v[90:91]
	v_mul_f64_e32 v[100:101], s[30:31], v[152:153]
	s_delay_alu instid0(VALU_DEP_4) | instskip(NEXT) | instid1(VALU_DEP_2)
	v_add_f64_e32 v[94:95], v[96:97], v[94:95]
	v_fma_f64 v[102:103], v[154:155], s[2:3], v[100:101]
	v_fma_f64 v[96:97], v[154:155], s[2:3], -v[100:101]
	v_mul_f64_e32 v[100:101], s[28:29], v[172:173]
	s_delay_alu instid0(VALU_DEP_3) | instskip(SKIP_1) | instid1(VALU_DEP_4)
	v_add_f64_e32 v[88:89], v[102:103], v[88:89]
	v_mul_f64_e32 v[102:103], s[30:31], v[158:159]
	v_add_f64_e32 v[92:93], v[96:97], v[92:93]
	s_delay_alu instid0(VALU_DEP_2) | instskip(SKIP_2) | instid1(VALU_DEP_3)
	v_fma_f64 v[104:105], v[156:157], s[2:3], -v[102:103]
	v_fma_f64 v[96:97], v[156:157], s[2:3], v[102:103]
	v_mul_f64_e32 v[102:103], s[28:29], v[178:179]
	v_add_f64_e32 v[104:105], v[104:105], v[90:91]
	v_fma_f64 v[90:91], v[116:117], s[8:9], v[124:125]
	s_delay_alu instid0(VALU_DEP_4) | instskip(SKIP_1) | instid1(VALU_DEP_3)
	v_add_f64_e32 v[96:97], v[96:97], v[94:95]
	v_fma_f64 v[94:95], v[116:117], s[8:9], -v[124:125]
	v_add_f64_e32 v[90:91], v[90:91], v[88:89]
	v_fma_f64 v[88:89], v[118:119], s[8:9], -v[180:181]
	s_delay_alu instid0(VALU_DEP_3)
	v_add_f64_e32 v[94:95], v[94:95], v[92:93]
	v_add_f64_e32 v[92:93], v[98:99], v[96:97]
	v_fma_f64 v[96:97], v[174:175], s[8:9], v[100:101]
	v_fma_f64 v[98:99], v[176:177], s[8:9], -v[102:103]
	v_fma_f64 v[100:101], v[174:175], s[8:9], -v[100:101]
	v_fma_f64 v[102:103], v[176:177], s[8:9], v[102:103]
	v_mul_f64_e32 v[180:181], s[30:31], v[114:115]
	v_add_f64_e32 v[88:89], v[88:89], v[104:105]
	v_mul_f64_e32 v[104:105], s[26:27], v[164:165]
	v_add_f64_e32 v[96:97], v[96:97], v[126:127]
	v_add_f64_e32 v[98:99], v[98:99], v[140:141]
	;; [unrolled: 1-line block ×4, first 2 shown]
	v_mul_f64_e32 v[140:141], s[30:31], v[112:113]
	v_mul_f64_e32 v[134:135], s[30:31], v[170:171]
	v_fma_f64 v[106:107], v[166:167], s[0:1], v[104:105]
	v_fma_f64 v[104:105], v[166:167], s[0:1], -v[104:105]
	s_delay_alu instid0(VALU_DEP_2) | instskip(SKIP_1) | instid1(VALU_DEP_3)
	v_add_f64_e32 v[96:97], v[106:107], v[96:97]
	v_mul_f64_e32 v[106:107], s[26:27], v[170:171]
	v_add_f64_e32 v[100:101], v[104:105], v[100:101]
	s_delay_alu instid0(VALU_DEP_2) | instskip(SKIP_2) | instid1(VALU_DEP_3)
	v_fma_f64 v[108:109], v[168:169], s[0:1], -v[106:107]
	v_fma_f64 v[104:105], v[168:169], s[0:1], v[106:107]
	v_fma_f64 v[106:107], v[118:119], s[2:3], v[180:181]
	v_add_f64_e32 v[98:99], v[108:109], v[98:99]
	v_mul_f64_e32 v[108:109], s[22:23], v[152:153]
	s_delay_alu instid0(VALU_DEP_4) | instskip(NEXT) | instid1(VALU_DEP_2)
	v_add_f64_e32 v[102:103], v[104:105], v[102:103]
	v_fma_f64 v[124:125], v[154:155], s[14:15], v[108:109]
	v_fma_f64 v[104:105], v[154:155], s[14:15], -v[108:109]
	s_delay_alu instid0(VALU_DEP_2) | instskip(SKIP_1) | instid1(VALU_DEP_3)
	v_add_f64_e32 v[96:97], v[124:125], v[96:97]
	v_mul_f64_e32 v[124:125], s[22:23], v[158:159]
	v_add_f64_e32 v[100:101], v[104:105], v[100:101]
	s_delay_alu instid0(VALU_DEP_2) | instskip(SKIP_3) | instid1(VALU_DEP_4)
	v_fma_f64 v[126:127], v[156:157], s[14:15], -v[124:125]
	v_fma_f64 v[104:105], v[156:157], s[14:15], v[124:125]
	v_mul_f64_e32 v[124:125], s[34:35], v[172:173]
	v_mul_f64_e32 v[172:173], s[16:17], v[172:173]
	v_add_f64_e32 v[126:127], v[126:127], v[98:99]
	v_fma_f64 v[98:99], v[116:117], s[2:3], v[140:141]
	v_add_f64_e32 v[104:105], v[104:105], v[102:103]
	v_fma_f64 v[102:103], v[116:117], s[2:3], -v[140:141]
	v_mul_f64_e32 v[140:141], s[26:27], v[158:159]
	s_delay_alu instid0(VALU_DEP_4) | instskip(SKIP_1) | instid1(VALU_DEP_4)
	v_add_f64_e32 v[98:99], v[98:99], v[96:97]
	v_fma_f64 v[96:97], v[118:119], s[2:3], -v[180:181]
	v_add_f64_e32 v[102:103], v[102:103], v[100:101]
	v_add_f64_e32 v[100:101], v[106:107], v[104:105]
	v_fma_f64 v[104:105], v[174:175], s[14:15], -v[124:125]
	v_mul_f64_e32 v[180:181], s[20:21], v[112:113]
	v_fma_f64 v[124:125], v[174:175], s[14:15], v[124:125]
	v_add_f64_e32 v[96:97], v[96:97], v[126:127]
	v_mul_f64_e32 v[126:127], s[30:31], v[164:165]
	v_add_f64_e32 v[104:105], v[104:105], v[120:121]
	v_mul_f64_e32 v[120:121], s[34:35], v[178:179]
	v_add_f64_e32 v[124:125], v[124:125], v[128:129]
	s_delay_alu instid0(VALU_DEP_4) | instskip(SKIP_1) | instid1(VALU_DEP_4)
	v_fma_f64 v[108:109], v[166:167], s[2:3], -v[126:127]
	v_fma_f64 v[126:127], v[166:167], s[2:3], v[126:127]
	v_fma_f64 v[106:107], v[176:177], s[14:15], v[120:121]
	v_fma_f64 v[120:121], v[176:177], s[14:15], -v[120:121]
	s_delay_alu instid0(VALU_DEP_4)
	v_add_f64_e32 v[104:105], v[108:109], v[104:105]
	v_fma_f64 v[108:109], v[168:169], s[2:3], v[134:135]
	v_add_f64_e32 v[124:125], v[126:127], v[124:125]
	v_add_f64_e32 v[106:107], v[106:107], v[136:137]
	v_mul_f64_e32 v[136:137], s[26:27], v[152:153]
	v_add_f64_e32 v[120:121], v[120:121], v[142:143]
	s_delay_alu instid0(VALU_DEP_3) | instskip(NEXT) | instid1(VALU_DEP_3)
	v_add_f64_e32 v[106:107], v[108:109], v[106:107]
	v_fma_f64 v[108:109], v[154:155], s[0:1], -v[136:137]
	v_fma_f64 v[136:137], v[154:155], s[0:1], v[136:137]
	s_delay_alu instid0(VALU_DEP_2) | instskip(SKIP_1) | instid1(VALU_DEP_1)
	v_add_f64_e32 v[104:105], v[108:109], v[104:105]
	v_fma_f64 v[108:109], v[156:157], s[0:1], v[140:141]
	v_add_f64_e32 v[108:109], v[108:109], v[106:107]
	v_fma_f64 v[106:107], v[116:117], s[12:13], -v[180:181]
	s_delay_alu instid0(VALU_DEP_1) | instskip(SKIP_1) | instid1(VALU_DEP_1)
	v_add_f64_e32 v[106:107], v[106:107], v[104:105]
	v_fma_f64 v[104:105], v[118:119], s[12:13], v[182:183]
	v_add_f64_e32 v[104:105], v[104:105], v[108:109]
	v_fma_f64 v[108:109], v[174:175], s[12:13], -v[184:185]
	s_delay_alu instid0(VALU_DEP_1) | instskip(SKIP_2) | instid1(VALU_DEP_2)
	v_add_f64_e32 v[108:109], v[108:109], v[122:123]
	v_mul_f64_e32 v[122:123], s[20:21], v[178:179]
	v_mul_f64_e32 v[178:179], s[16:17], v[178:179]
	v_fma_f64 v[110:111], v[176:177], s[12:13], v[122:123]
	v_fma_f64 v[122:123], v[176:177], s[12:13], -v[122:123]
	s_delay_alu instid0(VALU_DEP_2) | instskip(SKIP_2) | instid1(VALU_DEP_4)
	v_add_f64_e32 v[110:111], v[110:111], v[138:139]
	v_mul_f64_e32 v[138:139], s[34:35], v[164:165]
	v_mul_f64_e32 v[164:165], s[18:19], v[164:165]
	v_add_f64_e32 v[122:123], v[122:123], v[144:145]
	s_delay_alu instid0(VALU_DEP_3) | instskip(SKIP_1) | instid1(VALU_DEP_2)
	v_fma_f64 v[186:187], v[166:167], s[14:15], -v[138:139]
	v_fma_f64 v[138:139], v[166:167], s[14:15], v[138:139]
	v_add_f64_e32 v[108:109], v[186:187], v[108:109]
	v_mul_f64_e32 v[186:187], s[34:35], v[170:171]
	v_mul_f64_e32 v[170:171], s[18:19], v[170:171]
	s_delay_alu instid0(VALU_DEP_2) | instskip(NEXT) | instid1(VALU_DEP_2)
	v_fma_f64 v[188:189], v[168:169], s[14:15], v[186:187]
	v_fma_f64 v[142:143], v[168:169], s[8:9], -v[170:171]
	s_delay_alu instid0(VALU_DEP_2) | instskip(SKIP_2) | instid1(VALU_DEP_2)
	v_add_f64_e32 v[110:111], v[188:189], v[110:111]
	v_mul_f64_e32 v[188:189], s[28:29], v[152:153]
	v_mul_f64_e32 v[152:153], s[20:21], v[152:153]
	v_fma_f64 v[190:191], v[154:155], s[8:9], -v[188:189]
	s_delay_alu instid0(VALU_DEP_1) | instskip(SKIP_2) | instid1(VALU_DEP_2)
	v_add_f64_e32 v[108:109], v[190:191], v[108:109]
	v_mul_f64_e32 v[190:191], s[28:29], v[158:159]
	v_mul_f64_e32 v[158:159], s[20:21], v[158:159]
	v_fma_f64 v[192:193], v[156:157], s[8:9], v[190:191]
	s_delay_alu instid0(VALU_DEP_1) | instskip(SKIP_1) | instid1(VALU_DEP_1)
	v_add_f64_e32 v[192:193], v[192:193], v[110:111]
	v_fma_f64 v[110:111], v[116:117], s[0:1], -v[194:195]
	v_add_f64_e32 v[110:111], v[110:111], v[108:109]
	v_fma_f64 v[108:109], v[118:119], s[0:1], v[198:199]
	s_delay_alu instid0(VALU_DEP_1) | instskip(SKIP_1) | instid1(VALU_DEP_1)
	v_add_f64_e32 v[108:109], v[108:109], v[192:193]
	v_fma_f64 v[192:193], v[174:175], s[2:3], -v[172:173]
	v_add_f64_e32 v[148:149], v[192:193], v[148:149]
	v_fma_f64 v[192:193], v[176:177], s[2:3], v[178:179]
	s_delay_alu instid0(VALU_DEP_1) | instskip(SKIP_2) | instid1(VALU_DEP_2)
	v_add_f64_e32 v[150:151], v[192:193], v[150:151]
	v_fma_f64 v[192:193], v[166:167], s[8:9], -v[164:165]
	v_fma_f64 v[164:165], v[166:167], s[8:9], v[164:165]
	v_add_f64_e32 v[148:149], v[192:193], v[148:149]
	v_fma_f64 v[192:193], v[168:169], s[8:9], v[170:171]
	s_delay_alu instid0(VALU_DEP_1) | instskip(SKIP_2) | instid1(VALU_DEP_2)
	v_add_f64_e32 v[150:151], v[192:193], v[150:151]
	v_fma_f64 v[192:193], v[154:155], s[12:13], -v[152:153]
	v_fma_f64 v[152:153], v[154:155], s[12:13], v[152:153]
	v_add_f64_e32 v[148:149], v[192:193], v[148:149]
	v_fma_f64 v[192:193], v[156:157], s[12:13], v[158:159]
	s_delay_alu instid0(VALU_DEP_1) | instskip(SKIP_1) | instid1(VALU_DEP_1)
	v_add_f64_e32 v[150:151], v[192:193], v[150:151]
	v_mul_f64_e32 v[192:193], s[22:23], v[112:113]
	v_fma_f64 v[112:113], v[116:117], s[14:15], -v[192:193]
	s_delay_alu instid0(VALU_DEP_1) | instskip(SKIP_3) | instid1(VALU_DEP_3)
	v_add_f64_e32 v[114:115], v[112:113], v[148:149]
	v_fma_f64 v[112:113], v[118:119], s[14:15], v[216:217]
	v_add_f64_e32 v[148:149], v[160:161], v[224:225]
	v_fma_f64 v[160:161], v[174:175], s[12:13], v[184:185]
	v_add_f64_e32 v[112:113], v[112:113], v[150:151]
	v_add_f64_e32 v[150:151], v[162:163], v[222:223]
	v_fma_f64 v[162:163], v[174:175], s[2:3], v[172:173]
	v_fma_f64 v[172:173], v[176:177], s[2:3], -v[178:179]
	v_add_f64_e32 v[128:129], v[160:161], v[130:131]
	s_delay_alu instid0(VALU_DEP_3)
	v_add_f64_e32 v[130:131], v[162:163], v[132:133]
	v_fma_f64 v[132:133], v[168:169], s[2:3], -v[134:135]
	v_fma_f64 v[134:135], v[168:169], s[14:15], -v[186:187]
	v_add_f64_e32 v[144:145], v[172:173], v[146:147]
	v_fma_f64 v[146:147], v[154:155], s[8:9], v[188:189]
	v_add_f64_e32 v[126:127], v[138:139], v[128:129]
	v_add_f64_e32 v[128:129], v[164:165], v[130:131]
	;; [unrolled: 1-line block ×4, first 2 shown]
	v_fma_f64 v[130:131], v[156:157], s[0:1], -v[140:141]
	v_fma_f64 v[132:133], v[156:157], s[8:9], -v[190:191]
	;; [unrolled: 1-line block ×3, first 2 shown]
	v_add_f64_e32 v[138:139], v[142:143], v[144:145]
	v_fma_f64 v[140:141], v[116:117], s[12:13], v[180:181]
	v_fma_f64 v[142:143], v[116:117], s[0:1], v[194:195]
	;; [unrolled: 1-line block ×3, first 2 shown]
	v_add_f64_e32 v[116:117], v[136:137], v[124:125]
	v_add_f64_e32 v[124:125], v[146:147], v[126:127]
	;; [unrolled: 1-line block ×5, first 2 shown]
	v_fma_f64 v[122:123], v[118:119], s[12:13], -v[182:183]
	v_fma_f64 v[132:133], v[118:119], s[14:15], -v[216:217]
	v_add_f64_e32 v[134:135], v[134:135], v[138:139]
	v_fma_f64 v[130:131], v[118:119], s[0:1], -v[198:199]
	v_add_f64_e32 v[118:119], v[140:141], v[116:117]
	v_add_f64_e32 v[116:117], v[122:123], v[120:121]
	;; [unrolled: 1-line block ×4, first 2 shown]
	scratch_load_b32 v132, off, off offset:980 th:TH_LOAD_LU ; 4-byte Folded Reload
	v_add_f64_e32 v[120:121], v[130:131], v[126:127]
	v_add_f64_e32 v[126:127], v[144:145], v[128:129]
	v_add_f64_e32 v[130:131], v[148:149], v[220:221]
	v_add_f64_e32 v[128:129], v[150:151], v[218:219]
	s_wait_loadcnt 0x0
	v_lshlrev_b32_e32 v132, 4, v132
	ds_store_b128 v132, v[112:115] offset:16
	ds_store_b128 v132, v[108:111] offset:32
	;; [unrolled: 1-line block ×9, first 2 shown]
	ds_store_b128 v132, v[128:131]
	ds_store_b128 v132, v[124:127] offset:160
.LBB0_13:
	s_or_b32 exec_lo, exec_lo, s33
	global_wb scope:SCOPE_SE
	s_wait_dscnt 0x0
	s_barrier_signal -1
	s_barrier_wait -1
	global_inv scope:SCOPE_SE
	s_clause 0x2
	scratch_load_b128 v[94:97], off, off offset:580 th:TH_LOAD_LU
	scratch_load_b128 v[98:101], off, off offset:564 th:TH_LOAD_LU
	;; [unrolled: 1-line block ×3, first 2 shown]
	ds_load_b128 v[88:91], v196 offset:4400
	s_clause 0x1
	scratch_load_b128 v[108:111], off, off offset:516 th:TH_LOAD_LU
	scratch_load_b128 v[160:163], off, off offset:500 th:TH_LOAD_LU
	s_mov_b32 s8, 0x134454ff
	s_mov_b32 s9, 0xbfee6f0e
	;; [unrolled: 1-line block ×3, first 2 shown]
	s_wait_alu 0xfffe
	s_mov_b32 s12, s8
	s_mov_b32 s0, 0x4755a5e
	s_mov_b32 s1, 0xbfe2cf23
	s_mov_b32 s3, 0x3fe2cf23
	s_wait_alu 0xfffe
	s_mov_b32 s2, s0
	s_mov_b32 s14, 0x372fe950
	;; [unrolled: 1-line block ×3, first 2 shown]
	s_wait_loadcnt_dscnt 0x400
	v_mul_f64_e32 v[92:93], v[96:97], v[90:91]
	s_delay_alu instid0(VALU_DEP_1) | instskip(SKIP_1) | instid1(VALU_DEP_1)
	v_fma_f64 v[92:93], v[94:95], v[88:89], v[92:93]
	v_mul_f64_e32 v[88:89], v[96:97], v[88:89]
	v_fma_f64 v[94:95], v[94:95], v[90:91], -v[88:89]
	ds_load_b128 v[88:91], v196 offset:8800
	s_wait_loadcnt_dscnt 0x300
	v_mul_f64_e32 v[96:97], v[100:101], v[90:91]
	s_delay_alu instid0(VALU_DEP_1) | instskip(SKIP_1) | instid1(VALU_DEP_1)
	v_fma_f64 v[168:169], v[98:99], v[88:89], v[96:97]
	v_mul_f64_e32 v[88:89], v[100:101], v[88:89]
	v_fma_f64 v[170:171], v[98:99], v[90:91], -v[88:89]
	scratch_load_b128 v[98:101], off, off offset:612 th:TH_LOAD_LU ; 16-byte Folded Reload
	ds_load_b128 v[88:91], v196 offset:13200
	s_wait_loadcnt_dscnt 0x0
	v_mul_f64_e32 v[96:97], v[100:101], v[90:91]
	s_delay_alu instid0(VALU_DEP_1) | instskip(SKIP_1) | instid1(VALU_DEP_2)
	v_fma_f64 v[172:173], v[98:99], v[88:89], v[96:97]
	v_mul_f64_e32 v[88:89], v[100:101], v[88:89]
	v_add_f64_e64 v[188:189], v[168:169], -v[172:173]
	s_delay_alu instid0(VALU_DEP_2)
	v_fma_f64 v[174:175], v[98:99], v[90:91], -v[88:89]
	scratch_load_b128 v[98:101], off, off offset:596 th:TH_LOAD_LU ; 16-byte Folded Reload
	ds_load_b128 v[88:91], v196 offset:17600
	v_add_f64_e64 v[184:185], v[170:171], -v[174:175]
	s_wait_loadcnt_dscnt 0x0
	v_mul_f64_e32 v[96:97], v[100:101], v[90:91]
	s_delay_alu instid0(VALU_DEP_1) | instskip(SKIP_1) | instid1(VALU_DEP_2)
	v_fma_f64 v[176:177], v[98:99], v[88:89], v[96:97]
	v_mul_f64_e32 v[88:89], v[100:101], v[88:89]
	v_add_f64_e64 v[190:191], v[92:93], -v[176:177]
	s_delay_alu instid0(VALU_DEP_2)
	v_fma_f64 v[178:179], v[98:99], v[90:91], -v[88:89]
	scratch_load_b128 v[98:101], off, off offset:628 th:TH_LOAD_LU ; 16-byte Folded Reload
	ds_load_b128 v[88:91], v196 offset:5280
	v_add_f64_e64 v[186:187], v[94:95], -v[178:179]
	s_wait_loadcnt_dscnt 0x0
	v_mul_f64_e32 v[96:97], v[100:101], v[90:91]
	s_delay_alu instid0(VALU_DEP_1) | instskip(SKIP_1) | instid1(VALU_DEP_1)
	v_fma_f64 v[146:147], v[98:99], v[88:89], v[96:97]
	v_mul_f64_e32 v[88:89], v[100:101], v[88:89]
	v_fma_f64 v[144:145], v[98:99], v[90:91], -v[88:89]
	scratch_load_b128 v[98:101], off, off offset:660 th:TH_LOAD_LU ; 16-byte Folded Reload
	ds_load_b128 v[88:91], v196 offset:9680
	s_wait_loadcnt_dscnt 0x0
	v_mul_f64_e32 v[96:97], v[100:101], v[90:91]
	s_delay_alu instid0(VALU_DEP_1) | instskip(SKIP_1) | instid1(VALU_DEP_1)
	v_fma_f64 v[148:149], v[98:99], v[88:89], v[96:97]
	v_mul_f64_e32 v[88:89], v[100:101], v[88:89]
	v_fma_f64 v[150:151], v[98:99], v[90:91], -v[88:89]
	scratch_load_b128 v[98:101], off, off offset:644 th:TH_LOAD_LU ; 16-byte Folded Reload
	ds_load_b128 v[88:91], v196 offset:14080
	;; [unrolled: 8-line block ×11, first 2 shown]
	s_wait_loadcnt_dscnt 0x0
	v_mul_f64_e32 v[96:97], v[100:101], v[90:91]
	s_delay_alu instid0(VALU_DEP_1) | instskip(SKIP_1) | instid1(VALU_DEP_1)
	v_fma_f64 v[126:127], v[98:99], v[88:89], v[96:97]
	v_mul_f64_e32 v[88:89], v[100:101], v[88:89]
	v_fma_f64 v[124:125], v[98:99], v[90:91], -v[88:89]
	ds_load_b128 v[88:91], v196 offset:7920
	s_wait_dscnt 0x0
	v_mul_f64_e32 v[96:97], v[104:105], v[90:91]
	s_delay_alu instid0(VALU_DEP_1) | instskip(SKIP_1) | instid1(VALU_DEP_1)
	v_fma_f64 v[100:101], v[102:103], v[88:89], v[96:97]
	v_mul_f64_e32 v[88:89], v[104:105], v[88:89]
	v_fma_f64 v[96:97], v[102:103], v[90:91], -v[88:89]
	scratch_load_b128 v[102:105], off, off offset:532 th:TH_LOAD_LU ; 16-byte Folded Reload
	ds_load_b128 v[88:91], v196 offset:12320
	s_wait_loadcnt_dscnt 0x0
	v_mul_f64_e32 v[98:99], v[104:105], v[90:91]
	s_delay_alu instid0(VALU_DEP_1) | instskip(SKIP_1) | instid1(VALU_DEP_1)
	v_fma_f64 v[106:107], v[102:103], v[88:89], v[98:99]
	v_mul_f64_e32 v[88:89], v[104:105], v[88:89]
	v_fma_f64 v[98:99], v[102:103], v[90:91], -v[88:89]
	ds_load_b128 v[88:91], v196 offset:16720
	s_wait_dscnt 0x0
	v_mul_f64_e32 v[102:103], v[110:111], v[90:91]
	s_delay_alu instid0(VALU_DEP_1) | instskip(SKIP_1) | instid1(VALU_DEP_1)
	v_fma_f64 v[104:105], v[108:109], v[88:89], v[102:103]
	v_mul_f64_e32 v[88:89], v[110:111], v[88:89]
	v_fma_f64 v[102:103], v[108:109], v[90:91], -v[88:89]
	ds_load_b128 v[88:91], v196 offset:21120
	s_wait_dscnt 0x0
	v_mul_f64_e32 v[108:109], v[162:163], v[90:91]
	s_delay_alu instid0(VALU_DEP_1) | instskip(SKIP_1) | instid1(VALU_DEP_1)
	v_fma_f64 v[110:111], v[160:161], v[88:89], v[108:109]
	v_mul_f64_e32 v[88:89], v[162:163], v[88:89]
	v_fma_f64 v[108:109], v[160:161], v[90:91], -v[88:89]
	v_add_f64_e64 v[88:89], v[168:169], -v[92:93]
	v_add_f64_e64 v[90:91], v[172:173], -v[176:177]
	v_add_f64_e32 v[160:161], v[92:93], v[176:177]
	s_delay_alu instid0(VALU_DEP_2) | instskip(SKIP_2) | instid1(VALU_DEP_1)
	v_add_f64_e32 v[164:165], v[88:89], v[90:91]
	v_add_f64_e64 v[88:89], v[170:171], -v[94:95]
	v_add_f64_e64 v[90:91], v[174:175], -v[178:179]
	v_add_f64_e32 v[166:167], v[88:89], v[90:91]
	ds_load_b128 v[88:91], v196
	s_wait_dscnt 0x0
	v_fma_f64 v[180:181], v[160:161], -0.5, v[88:89]
	v_add_f64_e32 v[160:161], v[94:95], v[178:179]
	s_delay_alu instid0(VALU_DEP_1) | instskip(NEXT) | instid1(VALU_DEP_3)
	v_fma_f64 v[182:183], v[160:161], -0.5, v[90:91]
	v_fma_f64 v[160:161], v[184:185], s[12:13], v[180:181]
	v_fma_f64 v[180:181], v[184:185], s[8:9], v[180:181]
	s_delay_alu instid0(VALU_DEP_3) | instskip(SKIP_1) | instid1(VALU_DEP_4)
	v_fma_f64 v[162:163], v[188:189], s[8:9], v[182:183]
	v_fma_f64 v[182:183], v[188:189], s[12:13], v[182:183]
	;; [unrolled: 1-line block ×3, first 2 shown]
	s_wait_alu 0xfffe
	s_delay_alu instid0(VALU_DEP_4) | instskip(NEXT) | instid1(VALU_DEP_4)
	v_fma_f64 v[180:181], v[186:187], s[2:3], v[180:181]
	v_fma_f64 v[162:163], v[190:191], s[2:3], v[162:163]
	s_delay_alu instid0(VALU_DEP_4) | instskip(NEXT) | instid1(VALU_DEP_4)
	v_fma_f64 v[182:183], v[190:191], s[0:1], v[182:183]
	v_fma_f64 v[160:161], v[164:165], s[14:15], v[160:161]
	s_delay_alu instid0(VALU_DEP_4) | instskip(SKIP_4) | instid1(VALU_DEP_4)
	v_fma_f64 v[164:165], v[164:165], s[14:15], v[180:181]
	v_add_f64_e32 v[180:181], v[168:169], v[172:173]
	v_fma_f64 v[162:163], v[166:167], s[14:15], v[162:163]
	v_fma_f64 v[166:167], v[166:167], s[14:15], v[182:183]
	v_add_f64_e32 v[182:183], v[170:171], v[174:175]
	v_fma_f64 v[180:181], v[180:181], -0.5, v[88:89]
	v_add_f64_e32 v[88:89], v[88:89], v[92:93]
	v_add_f64_e64 v[92:93], v[92:93], -v[168:169]
	s_delay_alu instid0(VALU_DEP_4) | instskip(SKIP_3) | instid1(VALU_DEP_3)
	v_fma_f64 v[182:183], v[182:183], -0.5, v[90:91]
	v_add_f64_e32 v[90:91], v[90:91], v[94:95]
	v_add_f64_e64 v[94:95], v[94:95], -v[170:171]
	v_add_f64_e32 v[88:89], v[88:89], v[168:169]
	v_add_f64_e32 v[90:91], v[90:91], v[170:171]
	s_delay_alu instid0(VALU_DEP_2) | instskip(SKIP_1) | instid1(VALU_DEP_3)
	v_add_f64_e32 v[88:89], v[88:89], v[172:173]
	v_add_f64_e64 v[172:173], v[176:177], -v[172:173]
	v_add_f64_e32 v[90:91], v[90:91], v[174:175]
	s_delay_alu instid0(VALU_DEP_3)
	v_add_f64_e32 v[168:169], v[88:89], v[176:177]
	v_add_f64_e64 v[88:89], v[178:179], -v[174:175]
	v_fma_f64 v[174:175], v[186:187], s[12:13], v[180:181]
	v_fma_f64 v[176:177], v[190:191], s[12:13], v[182:183]
	v_add_f64_e32 v[92:93], v[92:93], v[172:173]
	v_add_f64_e32 v[170:171], v[90:91], v[178:179]
	v_fma_f64 v[90:91], v[186:187], s[8:9], v[180:181]
	v_fma_f64 v[178:179], v[190:191], s[8:9], v[182:183]
	v_add_f64_e32 v[88:89], v[94:95], v[88:89]
	v_fma_f64 v[94:95], v[184:185], s[2:3], v[174:175]
	v_fma_f64 v[174:175], v[188:189], s[2:3], v[176:177]
	;; [unrolled: 1-line block ×4, first 2 shown]
	s_delay_alu instid0(VALU_DEP_4) | instskip(NEXT) | instid1(VALU_DEP_4)
	v_fma_f64 v[176:177], v[92:93], s[14:15], v[94:95]
	v_fma_f64 v[174:175], v[88:89], s[14:15], v[174:175]
	s_delay_alu instid0(VALU_DEP_4) | instskip(NEXT) | instid1(VALU_DEP_4)
	v_fma_f64 v[172:173], v[92:93], s[14:15], v[90:91]
	v_fma_f64 v[178:179], v[88:89], s[14:15], v[178:179]
	ds_load_b128 v[88:91], v196 offset:3520
	ds_load_b128 v[180:183], v196 offset:880
	;; [unrolled: 1-line block ×4, first 2 shown]
	global_wb scope:SCOPE_SE
	s_wait_dscnt 0x0
	s_barrier_signal -1
	s_barrier_wait -1
	global_inv scope:SCOPE_SE
	scratch_load_b32 v188, off, off offset:836 th:TH_LOAD_LU ; 4-byte Folded Reload
	s_wait_loadcnt 0x0
	ds_store_b128 v188, v[168:171]
	ds_store_b128 v188, v[172:175] offset:176
	ds_store_b128 v188, v[160:163] offset:352
	;; [unrolled: 1-line block ×4, first 2 shown]
	v_add_f64_e64 v[160:161], v[148:149], -v[146:147]
	v_add_f64_e64 v[162:163], v[154:155], -v[156:157]
	;; [unrolled: 1-line block ×7, first 2 shown]
	v_add_f64_e32 v[164:165], v[160:161], v[162:163]
	v_add_f64_e64 v[160:161], v[150:151], -v[144:145]
	v_add_f64_e64 v[162:163], v[152:153], -v[158:159]
	s_delay_alu instid0(VALU_DEP_1) | instskip(SKIP_1) | instid1(VALU_DEP_1)
	v_add_f64_e32 v[166:167], v[160:161], v[162:163]
	v_add_f64_e32 v[160:161], v[146:147], v[156:157]
	v_fma_f64 v[168:169], v[160:161], -0.5, v[180:181]
	v_add_f64_e32 v[160:161], v[144:145], v[158:159]
	s_delay_alu instid0(VALU_DEP_1) | instskip(NEXT) | instid1(VALU_DEP_3)
	v_fma_f64 v[170:171], v[160:161], -0.5, v[182:183]
	v_fma_f64 v[160:161], v[172:173], s[12:13], v[168:169]
	v_fma_f64 v[168:169], v[172:173], s[8:9], v[168:169]
	s_delay_alu instid0(VALU_DEP_3) | instskip(NEXT) | instid1(VALU_DEP_3)
	v_fma_f64 v[162:163], v[176:177], s[8:9], v[170:171]
	v_fma_f64 v[160:161], v[174:175], s[0:1], v[160:161]
	;; [unrolled: 1-line block ×3, first 2 shown]
	s_delay_alu instid0(VALU_DEP_4) | instskip(NEXT) | instid1(VALU_DEP_4)
	v_fma_f64 v[168:169], v[174:175], s[2:3], v[168:169]
	v_fma_f64 v[162:163], v[178:179], s[2:3], v[162:163]
	s_delay_alu instid0(VALU_DEP_4) | instskip(NEXT) | instid1(VALU_DEP_4)
	v_fma_f64 v[160:161], v[164:165], s[14:15], v[160:161]
	v_fma_f64 v[170:171], v[178:179], s[0:1], v[170:171]
	s_delay_alu instid0(VALU_DEP_4) | instskip(SKIP_2) | instid1(VALU_DEP_4)
	v_fma_f64 v[164:165], v[164:165], s[14:15], v[168:169]
	v_add_f64_e32 v[168:169], v[148:149], v[154:155]
	v_fma_f64 v[162:163], v[166:167], s[14:15], v[162:163]
	v_fma_f64 v[166:167], v[166:167], s[14:15], v[170:171]
	v_add_f64_e32 v[170:171], v[150:151], v[152:153]
	s_delay_alu instid0(VALU_DEP_4) | instskip(SKIP_1) | instid1(VALU_DEP_3)
	v_fma_f64 v[168:169], v[168:169], -0.5, v[180:181]
	v_add_f64_e32 v[180:181], v[180:181], v[146:147]
	v_fma_f64 v[170:171], v[170:171], -0.5, v[182:183]
	v_add_f64_e32 v[182:183], v[182:183], v[144:145]
	s_delay_alu instid0(VALU_DEP_3) | instskip(NEXT) | instid1(VALU_DEP_2)
	v_add_f64_e32 v[146:147], v[180:181], v[148:149]
	v_add_f64_e32 v[148:149], v[182:183], v[150:151]
	v_add_f64_e64 v[150:151], v[144:145], -v[150:151]
	s_delay_alu instid0(VALU_DEP_3) | instskip(NEXT) | instid1(VALU_DEP_3)
	v_add_f64_e32 v[144:145], v[146:147], v[154:155]
	v_add_f64_e32 v[146:147], v[148:149], v[152:153]
	v_add_f64_e64 v[148:149], v[156:157], -v[154:155]
	s_delay_alu instid0(VALU_DEP_3)
	v_add_f64_e32 v[144:145], v[144:145], v[156:157]
	v_add_f64_e64 v[152:153], v[158:159], -v[152:153]
	v_fma_f64 v[156:157], v[174:175], s[12:13], v[168:169]
	v_fma_f64 v[154:155], v[174:175], s[8:9], v[168:169]
	;; [unrolled: 1-line block ×3, first 2 shown]
	v_add_f64_e32 v[146:147], v[146:147], v[158:159]
	v_fma_f64 v[158:159], v[178:179], s[12:13], v[170:171]
	v_add_f64_e32 v[170:171], v[188:189], v[148:149]
	v_add_f64_e32 v[174:175], v[150:151], v[152:153]
	v_fma_f64 v[152:153], v[172:173], s[2:3], v[156:157]
	scratch_load_b32 v156, off, off offset:832 th:TH_LOAD_LU ; 4-byte Folded Reload
	v_fma_f64 v[148:149], v[172:173], s[0:1], v[154:155]
	v_fma_f64 v[154:155], v[176:177], s[0:1], v[168:169]
	;; [unrolled: 1-line block ×3, first 2 shown]
	v_add_f64_e64 v[158:159], v[128:129], -v[140:141]
	v_fma_f64 v[152:153], v[170:171], s[14:15], v[152:153]
	v_fma_f64 v[148:149], v[170:171], s[14:15], v[148:149]
	;; [unrolled: 1-line block ×4, first 2 shown]
	s_wait_loadcnt 0x0
	ds_store_b128 v156, v[144:147]
	ds_store_b128 v156, v[148:151] offset:176
	ds_store_b128 v156, v[160:163] offset:352
	;; [unrolled: 1-line block ×4, first 2 shown]
	v_add_f64_e64 v[144:145], v[138:139], -v[132:133]
	v_add_f64_e64 v[146:147], v[136:137], -v[142:143]
	;; [unrolled: 1-line block ×5, first 2 shown]
	v_add_f64_e32 v[164:165], v[184:185], v[132:133]
	v_add_f64_e32 v[166:167], v[186:187], v[128:129]
	v_add_f64_e32 v[148:149], v[144:145], v[146:147]
	v_add_f64_e64 v[144:145], v[130:131], -v[128:129]
	v_add_f64_e64 v[146:147], v[134:135], -v[140:141]
	s_delay_alu instid0(VALU_DEP_1) | instskip(SKIP_2) | instid1(VALU_DEP_2)
	v_add_f64_e32 v[150:151], v[144:145], v[146:147]
	v_add_f64_e32 v[144:145], v[132:133], v[142:143]
	v_add_f64_e64 v[132:133], v[132:133], -v[138:139]
	v_fma_f64 v[152:153], v[144:145], -0.5, v[184:185]
	v_add_f64_e32 v[144:145], v[128:129], v[140:141]
	v_add_f64_e64 v[128:129], v[128:129], -v[130:131]
	s_delay_alu instid0(VALU_DEP_2) | instskip(NEXT) | instid1(VALU_DEP_4)
	v_fma_f64 v[154:155], v[144:145], -0.5, v[186:187]
	v_fma_f64 v[144:145], v[156:157], s[12:13], v[152:153]
	v_fma_f64 v[152:153], v[156:157], s[8:9], v[152:153]
	s_delay_alu instid0(VALU_DEP_3) | instskip(NEXT) | instid1(VALU_DEP_3)
	v_fma_f64 v[146:147], v[160:161], s[8:9], v[154:155]
	v_fma_f64 v[144:145], v[158:159], s[0:1], v[144:145]
	s_delay_alu instid0(VALU_DEP_3) | instskip(SKIP_1) | instid1(VALU_DEP_4)
	v_fma_f64 v[152:153], v[158:159], s[2:3], v[152:153]
	v_fma_f64 v[154:155], v[160:161], s[12:13], v[154:155]
	;; [unrolled: 1-line block ×3, first 2 shown]
	s_delay_alu instid0(VALU_DEP_4) | instskip(NEXT) | instid1(VALU_DEP_4)
	v_fma_f64 v[144:145], v[148:149], s[14:15], v[144:145]
	v_fma_f64 v[148:149], v[148:149], s[14:15], v[152:153]
	v_add_f64_e32 v[152:153], v[138:139], v[136:137]
	v_fma_f64 v[154:155], v[162:163], s[0:1], v[154:155]
	v_add_f64_e32 v[138:139], v[164:165], v[138:139]
	v_fma_f64 v[146:147], v[150:151], s[14:15], v[146:147]
	s_delay_alu instid0(VALU_DEP_4) | instskip(NEXT) | instid1(VALU_DEP_4)
	v_fma_f64 v[152:153], v[152:153], -0.5, v[184:185]
	v_fma_f64 v[150:151], v[150:151], s[14:15], v[154:155]
	v_add_f64_e32 v[154:155], v[130:131], v[134:135]
	v_add_f64_e32 v[138:139], v[138:139], v[136:137]
	s_delay_alu instid0(VALU_DEP_4)
	v_fma_f64 v[164:165], v[158:159], s[8:9], v[152:153]
	v_fma_f64 v[152:153], v[158:159], s[12:13], v[152:153]
	v_add_f64_e32 v[158:159], v[166:167], v[130:131]
	v_fma_f64 v[154:155], v[154:155], -0.5, v[186:187]
	v_add_f64_e64 v[166:167], v[142:143], -v[136:137]
	v_add_f64_e32 v[136:137], v[138:139], v[142:143]
	v_add_f64_e64 v[130:131], v[140:141], -v[134:135]
	v_fma_f64 v[142:143], v[156:157], s[0:1], v[164:165]
	v_fma_f64 v[152:153], v[156:157], s[2:3], v[152:153]
	v_add_f64_e32 v[158:159], v[158:159], v[134:135]
	v_fma_f64 v[134:135], v[162:163], s[12:13], v[154:155]
	v_add_f64_e32 v[132:133], v[132:133], v[166:167]
	s_delay_alu instid0(VALU_DEP_3)
	v_add_f64_e32 v[138:139], v[158:159], v[140:141]
	v_fma_f64 v[140:141], v[162:163], s[8:9], v[154:155]
	v_add_f64_e32 v[154:155], v[128:129], v[130:131]
	v_fma_f64 v[130:131], v[160:161], s[2:3], v[134:135]
	v_fma_f64 v[128:129], v[132:133], s[14:15], v[142:143]
	;; [unrolled: 1-line block ×4, first 2 shown]
	scratch_load_b32 v140, off, off offset:824 th:TH_LOAD_LU ; 4-byte Folded Reload
	v_fma_f64 v[130:131], v[154:155], s[14:15], v[130:131]
	v_fma_f64 v[134:135], v[154:155], s[14:15], v[134:135]
	s_wait_loadcnt 0x0
	ds_store_b128 v140, v[136:139]
	ds_store_b128 v140, v[128:131] offset:176
	ds_store_b128 v140, v[144:147] offset:352
	;; [unrolled: 1-line block ×4, first 2 shown]
	v_add_f64_e64 v[128:129], v[120:121], -v[116:117]
	v_add_f64_e64 v[130:131], v[122:123], -v[126:127]
	;; [unrolled: 1-line block ×6, first 2 shown]
	v_add_f64_e32 v[132:133], v[128:129], v[130:131]
	v_add_f64_e64 v[128:129], v[114:115], -v[112:113]
	v_add_f64_e64 v[130:131], v[118:119], -v[124:125]
	s_delay_alu instid0(VALU_DEP_1) | instskip(SKIP_2) | instid1(VALU_DEP_2)
	v_add_f64_e32 v[134:135], v[128:129], v[130:131]
	v_add_f64_e32 v[128:129], v[116:117], v[126:127]
	;; [unrolled: 1-line block ×3, first 2 shown]
	v_fma_f64 v[136:137], v[128:129], -0.5, v[92:93]
	s_delay_alu instid0(VALU_DEP_2) | instskip(NEXT) | instid1(VALU_DEP_2)
	v_fma_f64 v[142:143], v[130:131], -0.5, v[94:95]
	v_fma_f64 v[128:129], v[138:139], s[12:13], v[136:137]
	v_fma_f64 v[136:137], v[138:139], s[8:9], v[136:137]
	s_delay_alu instid0(VALU_DEP_3) | instskip(SKIP_1) | instid1(VALU_DEP_4)
	v_fma_f64 v[130:131], v[144:145], s[8:9], v[142:143]
	v_fma_f64 v[142:143], v[144:145], s[12:13], v[142:143]
	;; [unrolled: 1-line block ×3, first 2 shown]
	s_delay_alu instid0(VALU_DEP_4) | instskip(NEXT) | instid1(VALU_DEP_4)
	v_fma_f64 v[136:137], v[140:141], s[2:3], v[136:137]
	v_fma_f64 v[130:131], v[146:147], s[2:3], v[130:131]
	s_delay_alu instid0(VALU_DEP_4) | instskip(NEXT) | instid1(VALU_DEP_4)
	v_fma_f64 v[142:143], v[146:147], s[0:1], v[142:143]
	v_fma_f64 v[128:129], v[132:133], s[14:15], v[128:129]
	s_delay_alu instid0(VALU_DEP_4) | instskip(SKIP_4) | instid1(VALU_DEP_4)
	v_fma_f64 v[132:133], v[132:133], s[14:15], v[136:137]
	v_add_f64_e32 v[136:137], v[120:121], v[122:123]
	v_fma_f64 v[130:131], v[134:135], s[14:15], v[130:131]
	v_fma_f64 v[134:135], v[134:135], s[14:15], v[142:143]
	v_add_f64_e32 v[142:143], v[114:115], v[118:119]
	v_fma_f64 v[136:137], v[136:137], -0.5, v[92:93]
	v_add_f64_e32 v[92:93], v[92:93], v[116:117]
	v_add_f64_e64 v[116:117], v[116:117], -v[120:121]
	s_delay_alu instid0(VALU_DEP_4)
	v_fma_f64 v[142:143], v[142:143], -0.5, v[94:95]
	v_add_f64_e32 v[94:95], v[94:95], v[112:113]
	v_add_f64_e64 v[112:113], v[112:113], -v[114:115]
	v_add_f64_e32 v[92:93], v[92:93], v[120:121]
	v_fma_f64 v[120:121], v[140:141], s[8:9], v[136:137]
	v_fma_f64 v[136:137], v[140:141], s[12:13], v[136:137]
	v_add_f64_e32 v[94:95], v[94:95], v[114:115]
	v_add_f64_e64 v[114:115], v[124:125], -v[118:119]
	v_add_f64_e32 v[92:93], v[92:93], v[122:123]
	v_add_f64_e64 v[122:123], v[126:127], -v[122:123]
	v_fma_f64 v[120:121], v[138:139], s[0:1], v[120:121]
	v_add_f64_e32 v[94:95], v[94:95], v[118:119]
	v_fma_f64 v[118:119], v[146:147], s[12:13], v[142:143]
	v_add_f64_e32 v[92:93], v[92:93], v[126:127]
	v_add_f64_e32 v[116:117], v[116:117], v[122:123]
	;; [unrolled: 1-line block ×4, first 2 shown]
	v_fma_f64 v[124:125], v[146:147], s[8:9], v[142:143]
	v_fma_f64 v[114:115], v[144:145], s[2:3], v[118:119]
	;; [unrolled: 1-line block ×4, first 2 shown]
	scratch_load_b32 v120, off, off offset:820 th:TH_LOAD_LU ; 4-byte Folded Reload
	v_fma_f64 v[118:119], v[144:145], s[0:1], v[124:125]
	v_fma_f64 v[114:115], v[126:127], s[14:15], v[114:115]
	v_fma_f64 v[116:117], v[116:117], s[14:15], v[122:123]
	v_add_f64_e64 v[124:125], v[106:107], -v[104:105]
	s_delay_alu instid0(VALU_DEP_4)
	v_fma_f64 v[118:119], v[126:127], s[14:15], v[118:119]
	v_add_f64_e64 v[126:127], v[100:101], -v[110:111]
	s_wait_loadcnt 0x0
	ds_store_b128 v120, v[92:95]
	ds_store_b128 v120, v[112:115] offset:176
	ds_store_b128 v120, v[128:131] offset:352
	;; [unrolled: 1-line block ×4, first 2 shown]
	v_add_f64_e64 v[92:93], v[106:107], -v[100:101]
	v_add_f64_e64 v[94:95], v[104:105], -v[110:111]
	;; [unrolled: 1-line block ×4, first 2 shown]
	s_delay_alu instid0(VALU_DEP_3) | instskip(SKIP_2) | instid1(VALU_DEP_1)
	v_add_f64_e32 v[112:113], v[92:93], v[94:95]
	v_add_f64_e64 v[92:93], v[98:99], -v[96:97]
	v_add_f64_e64 v[94:95], v[102:103], -v[108:109]
	v_add_f64_e32 v[114:115], v[92:93], v[94:95]
	v_add_f64_e32 v[92:93], v[100:101], v[110:111]
	;; [unrolled: 1-line block ×3, first 2 shown]
	s_delay_alu instid0(VALU_DEP_2) | instskip(NEXT) | instid1(VALU_DEP_2)
	v_fma_f64 v[116:117], v[92:93], -0.5, v[88:89]
	v_fma_f64 v[122:123], v[94:95], -0.5, v[90:91]
	s_delay_alu instid0(VALU_DEP_2) | instskip(SKIP_1) | instid1(VALU_DEP_3)
	v_fma_f64 v[92:93], v[118:119], s[12:13], v[116:117]
	v_fma_f64 v[116:117], v[118:119], s[8:9], v[116:117]
	;; [unrolled: 1-line block ×4, first 2 shown]
	s_delay_alu instid0(VALU_DEP_4) | instskip(NEXT) | instid1(VALU_DEP_4)
	v_fma_f64 v[92:93], v[120:121], s[0:1], v[92:93]
	v_fma_f64 v[116:117], v[120:121], s[2:3], v[116:117]
	s_delay_alu instid0(VALU_DEP_4) | instskip(NEXT) | instid1(VALU_DEP_4)
	v_fma_f64 v[94:95], v[126:127], s[2:3], v[94:95]
	v_fma_f64 v[122:123], v[126:127], s[0:1], v[122:123]
	;; [unrolled: 3-line block ×3, first 2 shown]
	v_add_f64_e32 v[116:117], v[106:107], v[104:105]
	v_fma_f64 v[94:95], v[114:115], s[14:15], v[94:95]
	v_fma_f64 v[114:115], v[114:115], s[14:15], v[122:123]
	v_add_f64_e32 v[122:123], v[98:99], v[102:103]
	s_delay_alu instid0(VALU_DEP_4) | instskip(SKIP_2) | instid1(VALU_DEP_4)
	v_fma_f64 v[116:117], v[116:117], -0.5, v[88:89]
	v_add_f64_e32 v[88:89], v[88:89], v[100:101]
	v_add_f64_e64 v[100:101], v[100:101], -v[106:107]
	v_fma_f64 v[122:123], v[122:123], -0.5, v[90:91]
	v_add_f64_e32 v[90:91], v[90:91], v[96:97]
	v_add_f64_e64 v[96:97], v[96:97], -v[98:99]
	v_add_f64_e32 v[88:89], v[88:89], v[106:107]
	v_fma_f64 v[106:107], v[120:121], s[8:9], v[116:117]
	v_fma_f64 v[116:117], v[120:121], s[12:13], v[116:117]
	v_add_f64_e32 v[90:91], v[90:91], v[98:99]
	v_add_f64_e64 v[98:99], v[108:109], -v[102:103]
	v_add_f64_e32 v[88:89], v[88:89], v[104:105]
	v_add_f64_e64 v[104:105], v[110:111], -v[104:105]
	s_delay_alu instid0(VALU_DEP_4) | instskip(SKIP_1) | instid1(VALU_DEP_4)
	v_add_f64_e32 v[90:91], v[90:91], v[102:103]
	v_fma_f64 v[102:103], v[126:127], s[12:13], v[122:123]
	v_add_f64_e32 v[88:89], v[88:89], v[110:111]
	s_delay_alu instid0(VALU_DEP_4)
	v_add_f64_e32 v[100:101], v[100:101], v[104:105]
	v_fma_f64 v[104:105], v[118:119], s[0:1], v[106:107]
	v_add_f64_e32 v[110:111], v[96:97], v[98:99]
	v_add_f64_e32 v[90:91], v[90:91], v[108:109]
	v_fma_f64 v[108:109], v[126:127], s[8:9], v[122:123]
	v_fma_f64 v[98:99], v[124:125], s[2:3], v[102:103]
	v_fma_f64 v[106:107], v[118:119], s[2:3], v[116:117]
	v_fma_f64 v[96:97], v[100:101], s[14:15], v[104:105]
	scratch_load_b32 v104, off, off offset:828 th:TH_LOAD_LU ; 4-byte Folded Reload
	v_fma_f64 v[102:103], v[124:125], s[0:1], v[108:109]
	v_fma_f64 v[98:99], v[110:111], s[14:15], v[98:99]
	;; [unrolled: 1-line block ×3, first 2 shown]
	s_delay_alu instid0(VALU_DEP_3)
	v_fma_f64 v[102:103], v[110:111], s[14:15], v[102:103]
	s_wait_loadcnt 0x0
	ds_store_b128 v104, v[88:91]
	ds_store_b128 v104, v[96:99] offset:176
	ds_store_b128 v104, v[92:95] offset:352
	;; [unrolled: 1-line block ×4, first 2 shown]
	global_wb scope:SCOPE_SE
	s_wait_dscnt 0x0
	s_barrier_signal -1
	s_barrier_wait -1
	global_inv scope:SCOPE_SE
	ds_load_b128 v[88:91], v196 offset:4400
	scratch_load_b128 v[102:105], off, off offset:856 th:TH_LOAD_LU ; 16-byte Folded Reload
	s_wait_dscnt 0x0
	v_mul_f64_e32 v[92:93], v[214:215], v[90:91]
	s_delay_alu instid0(VALU_DEP_1) | instskip(SKIP_1) | instid1(VALU_DEP_1)
	v_fma_f64 v[92:93], v[212:213], v[88:89], v[92:93]
	v_mul_f64_e32 v[88:89], v[214:215], v[88:89]
	v_fma_f64 v[94:95], v[212:213], v[90:91], -v[88:89]
	ds_load_b128 v[88:91], v196 offset:5280
	s_wait_dscnt 0x0
	v_mul_f64_e32 v[96:97], v[214:215], v[90:91]
	s_delay_alu instid0(VALU_DEP_1) | instskip(SKIP_1) | instid1(VALU_DEP_1)
	v_fma_f64 v[144:145], v[212:213], v[88:89], v[96:97]
	v_mul_f64_e32 v[88:89], v[214:215], v[88:89]
	v_fma_f64 v[146:147], v[212:213], v[90:91], -v[88:89]
	ds_load_b128 v[88:91], v196 offset:8800
	;; [unrolled: 7-line block ×4, first 2 shown]
	s_wait_dscnt 0x0
	v_mul_f64_e32 v[100:101], v[206:207], v[90:91]
	s_delay_alu instid0(VALU_DEP_1) | instskip(SKIP_1) | instid1(VALU_DEP_2)
	v_fma_f64 v[132:133], v[204:205], v[88:89], v[100:101]
	v_mul_f64_e32 v[88:89], v[206:207], v[88:89]
	v_add_f64_e64 v[182:183], v[96:97], -v[132:133]
	s_delay_alu instid0(VALU_DEP_2) | instskip(SKIP_4) | instid1(VALU_DEP_2)
	v_fma_f64 v[134:135], v[204:205], v[90:91], -v[88:89]
	ds_load_b128 v[88:91], v196 offset:14080
	s_wait_dscnt 0x0
	v_mul_f64_e32 v[100:101], v[206:207], v[90:91]
	v_add_f64_e64 v[160:161], v[98:99], -v[134:135]
	v_fma_f64 v[152:153], v[204:205], v[88:89], v[100:101]
	v_mul_f64_e32 v[88:89], v[206:207], v[88:89]
	s_delay_alu instid0(VALU_DEP_2) | instskip(NEXT) | instid1(VALU_DEP_2)
	v_add_f64_e64 v[186:187], v[148:149], -v[152:153]
	v_fma_f64 v[154:155], v[204:205], v[90:91], -v[88:89]
	ds_load_b128 v[88:91], v196 offset:17600
	s_wait_dscnt 0x0
	v_mul_f64_e32 v[100:101], v[202:203], v[90:91]
	s_delay_alu instid0(VALU_DEP_1) | instskip(SKIP_1) | instid1(VALU_DEP_2)
	v_fma_f64 v[136:137], v[200:201], v[88:89], v[100:101]
	v_mul_f64_e32 v[88:89], v[202:203], v[88:89]
	v_add_f64_e64 v[180:181], v[92:93], -v[136:137]
	s_delay_alu instid0(VALU_DEP_2) | instskip(SKIP_4) | instid1(VALU_DEP_2)
	v_fma_f64 v[138:139], v[200:201], v[90:91], -v[88:89]
	ds_load_b128 v[88:91], v196 offset:18480
	s_wait_dscnt 0x0
	v_mul_f64_e32 v[100:101], v[202:203], v[90:91]
	v_add_f64_e64 v[142:143], v[94:95], -v[138:139]
	v_fma_f64 v[156:157], v[200:201], v[88:89], v[100:101]
	v_mul_f64_e32 v[88:89], v[202:203], v[88:89]
	s_delay_alu instid0(VALU_DEP_2) | instskip(NEXT) | instid1(VALU_DEP_2)
	v_add_f64_e64 v[184:185], v[144:145], -v[156:157]
	v_fma_f64 v[158:159], v[200:201], v[90:91], -v[88:89]
	ds_load_b128 v[88:91], v196 offset:6160
	s_wait_loadcnt_dscnt 0x0
	v_mul_f64_e32 v[100:101], v[104:105], v[90:91]
	s_delay_alu instid0(VALU_DEP_1) | instskip(SKIP_1) | instid1(VALU_DEP_1)
	v_fma_f64 v[164:165], v[102:103], v[88:89], v[100:101]
	v_mul_f64_e32 v[88:89], v[104:105], v[88:89]
	v_fma_f64 v[166:167], v[102:103], v[90:91], -v[88:89]
	scratch_load_b128 v[102:105], off, off offset:840 th:TH_LOAD_LU ; 16-byte Folded Reload
	ds_load_b128 v[88:91], v196 offset:10560
	s_wait_loadcnt_dscnt 0x0
	v_mul_f64_e32 v[100:101], v[104:105], v[90:91]
	s_delay_alu instid0(VALU_DEP_1) | instskip(SKIP_1) | instid1(VALU_DEP_1)
	v_fma_f64 v[168:169], v[102:103], v[88:89], v[100:101]
	v_mul_f64_e32 v[88:89], v[104:105], v[88:89]
	v_fma_f64 v[170:171], v[102:103], v[90:91], -v[88:89]
	scratch_load_b128 v[102:105], off, off offset:888 th:TH_LOAD_LU ; 16-byte Folded Reload
	ds_load_b128 v[88:91], v196 offset:14960
	s_wait_loadcnt_dscnt 0x0
	v_mul_f64_e32 v[100:101], v[104:105], v[90:91]
	s_delay_alu instid0(VALU_DEP_1) | instskip(SKIP_1) | instid1(VALU_DEP_2)
	v_fma_f64 v[172:173], v[102:103], v[88:89], v[100:101]
	v_mul_f64_e32 v[88:89], v[104:105], v[88:89]
	v_add_f64_e64 v[188:189], v[168:169], -v[172:173]
	s_delay_alu instid0(VALU_DEP_2) | instskip(SKIP_4) | instid1(VALU_DEP_1)
	v_fma_f64 v[174:175], v[102:103], v[90:91], -v[88:89]
	scratch_load_b128 v[102:105], off, off offset:872 th:TH_LOAD_LU ; 16-byte Folded Reload
	ds_load_b128 v[88:91], v196 offset:19360
	s_wait_loadcnt_dscnt 0x0
	v_mul_f64_e32 v[100:101], v[104:105], v[90:91]
	v_fma_f64 v[176:177], v[102:103], v[88:89], v[100:101]
	v_mul_f64_e32 v[88:89], v[104:105], v[88:89]
	s_delay_alu instid0(VALU_DEP_2) | instskip(NEXT) | instid1(VALU_DEP_2)
	v_add_f64_e64 v[190:191], v[164:165], -v[176:177]
	v_fma_f64 v[178:179], v[102:103], v[90:91], -v[88:89]
	scratch_load_b128 v[102:105], off, off offset:904 th:TH_LOAD_LU ; 16-byte Folded Reload
	ds_load_b128 v[88:91], v196 offset:7040
	s_wait_loadcnt_dscnt 0x0
	v_mul_f64_e32 v[100:101], v[104:105], v[90:91]
	s_delay_alu instid0(VALU_DEP_1) | instskip(SKIP_1) | instid1(VALU_DEP_1)
	v_fma_f64 v[118:119], v[102:103], v[88:89], v[100:101]
	v_mul_f64_e32 v[88:89], v[104:105], v[88:89]
	v_fma_f64 v[116:117], v[102:103], v[90:91], -v[88:89]
	scratch_load_b128 v[102:105], off, off offset:936 th:TH_LOAD_LU ; 16-byte Folded Reload
	ds_load_b128 v[88:91], v196 offset:11440
	s_wait_loadcnt_dscnt 0x0
	v_mul_f64_e32 v[100:101], v[104:105], v[90:91]
	s_delay_alu instid0(VALU_DEP_1) | instskip(SKIP_1) | instid1(VALU_DEP_1)
	v_fma_f64 v[120:121], v[102:103], v[88:89], v[100:101]
	v_mul_f64_e32 v[88:89], v[104:105], v[88:89]
	;; [unrolled: 8-line block ×3, first 2 shown]
	v_fma_f64 v[124:125], v[102:103], v[90:91], -v[88:89]
	ds_load_b128 v[88:91], v196 offset:20240
	s_wait_dscnt 0x0
	v_mul_f64_e32 v[100:101], v[246:247], v[90:91]
	s_delay_alu instid0(VALU_DEP_1) | instskip(SKIP_1) | instid1(VALU_DEP_1)
	v_fma_f64 v[128:129], v[244:245], v[88:89], v[100:101]
	v_mul_f64_e32 v[88:89], v[246:247], v[88:89]
	v_fma_f64 v[130:131], v[244:245], v[90:91], -v[88:89]
	ds_load_b128 v[88:91], v196 offset:7920
	s_wait_dscnt 0x0
	v_mul_f64_e32 v[100:101], v[250:251], v[90:91]
	s_delay_alu instid0(VALU_DEP_1) | instskip(SKIP_1) | instid1(VALU_DEP_1)
	v_fma_f64 v[104:105], v[248:249], v[88:89], v[100:101]
	v_mul_f64_e32 v[88:89], v[250:251], v[88:89]
	;; [unrolled: 7-line block ×3, first 2 shown]
	v_fma_f64 v[102:103], v[252:253], v[90:91], -v[88:89]
	ds_load_b128 v[88:91], v196 offset:16720
	s_wait_dscnt 0x0
	v_mul_f64_e32 v[106:107], v[2:3], v[90:91]
	v_mul_f64_e32 v[2:3], v[2:3], v[88:89]
	s_delay_alu instid0(VALU_DEP_2) | instskip(NEXT) | instid1(VALU_DEP_2)
	v_fma_f64 v[108:109], v[0:1], v[88:89], v[106:107]
	v_fma_f64 v[106:107], v[0:1], v[90:91], -v[2:3]
	ds_load_b128 v[0:3], v196 offset:21120
	s_wait_dscnt 0x0
	v_mul_f64_e32 v[88:89], v[6:7], v[2:3]
	s_delay_alu instid0(VALU_DEP_1)
	v_fma_f64 v[114:115], v[4:5], v[0:1], v[88:89]
	v_mul_f64_e32 v[0:1], v[6:7], v[0:1]
	ds_load_b128 v[88:91], v196
	v_add_f64_e32 v[6:7], v[98:99], v[134:135]
	v_fma_f64 v[112:113], v[4:5], v[2:3], -v[0:1]
	v_add_f64_e64 v[0:1], v[92:93], -v[96:97]
	v_add_f64_e64 v[2:3], v[136:137], -v[132:133]
	v_add_f64_e64 v[4:5], v[138:139], -v[134:135]
	s_wait_dscnt 0x0
	v_fma_f64 v[162:163], v[6:7], -0.5, v[90:91]
	s_delay_alu instid0(VALU_DEP_3) | instskip(SKIP_1) | instid1(VALU_DEP_3)
	v_add_f64_e32 v[0:1], v[0:1], v[2:3]
	v_add_f64_e64 v[2:3], v[94:95], -v[98:99]
	v_fma_f64 v[6:7], v[180:181], s[12:13], v[162:163]
	v_fma_f64 v[162:163], v[180:181], s[8:9], v[162:163]
	s_delay_alu instid0(VALU_DEP_3) | instskip(SKIP_1) | instid1(VALU_DEP_4)
	v_add_f64_e32 v[2:3], v[2:3], v[4:5]
	v_add_f64_e32 v[4:5], v[96:97], v[132:133]
	v_fma_f64 v[6:7], v[182:183], s[2:3], v[6:7]
	s_delay_alu instid0(VALU_DEP_4) | instskip(NEXT) | instid1(VALU_DEP_3)
	v_fma_f64 v[162:163], v[182:183], s[0:1], v[162:163]
	v_fma_f64 v[140:141], v[4:5], -0.5, v[88:89]
	s_delay_alu instid0(VALU_DEP_3) | instskip(NEXT) | instid1(VALU_DEP_3)
	v_fma_f64 v[6:7], v[2:3], s[14:15], v[6:7]
	v_fma_f64 v[2:3], v[2:3], s[14:15], v[162:163]
	v_add_f64_e32 v[162:163], v[94:95], v[138:139]
	s_delay_alu instid0(VALU_DEP_4) | instskip(SKIP_1) | instid1(VALU_DEP_3)
	v_fma_f64 v[4:5], v[142:143], s[8:9], v[140:141]
	v_fma_f64 v[140:141], v[142:143], s[12:13], v[140:141]
	v_fma_f64 v[162:163], v[162:163], -0.5, v[90:91]
	v_add_f64_e32 v[90:91], v[90:91], v[94:95]
	v_add_f64_e64 v[94:95], v[98:99], -v[94:95]
	v_fma_f64 v[4:5], v[160:161], s[0:1], v[4:5]
	v_fma_f64 v[140:141], v[160:161], s[2:3], v[140:141]
	s_delay_alu instid0(VALU_DEP_4) | instskip(SKIP_1) | instid1(VALU_DEP_4)
	v_add_f64_e32 v[90:91], v[90:91], v[98:99]
	v_add_f64_e64 v[98:99], v[134:135], -v[138:139]
	v_fma_f64 v[4:5], v[0:1], s[14:15], v[4:5]
	s_delay_alu instid0(VALU_DEP_4) | instskip(SKIP_4) | instid1(VALU_DEP_4)
	v_fma_f64 v[0:1], v[0:1], s[14:15], v[140:141]
	v_add_f64_e32 v[140:141], v[92:93], v[136:137]
	v_add_f64_e32 v[90:91], v[90:91], v[134:135]
	v_fma_f64 v[134:135], v[182:183], s[8:9], v[162:163]
	v_add_f64_e32 v[94:95], v[94:95], v[98:99]
	v_fma_f64 v[140:141], v[140:141], -0.5, v[88:89]
	v_add_f64_e32 v[88:89], v[88:89], v[92:93]
	v_add_f64_e64 v[92:93], v[96:97], -v[92:93]
	v_fma_f64 v[98:99], v[180:181], s[2:3], v[134:135]
	v_add_f64_e32 v[90:91], v[90:91], v[138:139]
	v_add_f64_e32 v[138:139], v[150:151], v[154:155]
	;; [unrolled: 1-line block ×3, first 2 shown]
	v_fma_f64 v[96:97], v[160:161], s[12:13], v[140:141]
	v_fma_f64 v[140:141], v[160:161], s[8:9], v[140:141]
	;; [unrolled: 1-line block ×3, first 2 shown]
	s_delay_alu instid0(VALU_DEP_4) | instskip(SKIP_2) | instid1(VALU_DEP_3)
	v_add_f64_e32 v[88:89], v[88:89], v[132:133]
	v_add_f64_e64 v[132:133], v[132:133], -v[136:137]
	v_fma_f64 v[96:97], v[142:143], s[0:1], v[96:97]
	v_add_f64_e32 v[88:89], v[88:89], v[136:137]
	v_fma_f64 v[136:137], v[182:183], s[12:13], v[162:163]
	s_delay_alu instid0(VALU_DEP_4) | instskip(SKIP_2) | instid1(VALU_DEP_4)
	v_add_f64_e32 v[92:93], v[92:93], v[132:133]
	v_fma_f64 v[132:133], v[142:143], s[2:3], v[140:141]
	v_add_f64_e64 v[162:163], v[146:147], -v[158:159]
	v_fma_f64 v[134:135], v[180:181], s[0:1], v[136:137]
	s_delay_alu instid0(VALU_DEP_4) | instskip(NEXT) | instid1(VALU_DEP_4)
	v_fma_f64 v[96:97], v[92:93], s[14:15], v[96:97]
	v_fma_f64 v[92:93], v[92:93], s[14:15], v[132:133]
	v_add_f64_e64 v[132:133], v[144:145], -v[148:149]
	v_add_f64_e32 v[136:137], v[148:149], v[152:153]
	v_add_f64_e64 v[180:181], v[150:151], -v[154:155]
	v_fma_f64 v[94:95], v[94:95], s[14:15], v[134:135]
	v_add_f64_e64 v[134:135], v[156:157], -v[152:153]
	s_delay_alu instid0(VALU_DEP_1) | instskip(SKIP_2) | instid1(VALU_DEP_1)
	v_add_f64_e32 v[140:141], v[132:133], v[134:135]
	v_add_f64_e64 v[132:133], v[146:147], -v[150:151]
	v_add_f64_e64 v[134:135], v[158:159], -v[154:155]
	v_add_f64_e32 v[142:143], v[132:133], v[134:135]
	ds_load_b128 v[132:135], v196 offset:880
	s_wait_dscnt 0x0
	v_fma_f64 v[160:161], v[136:137], -0.5, v[132:133]
	v_fma_f64 v[182:183], v[138:139], -0.5, v[134:135]
	s_delay_alu instid0(VALU_DEP_2) | instskip(SKIP_1) | instid1(VALU_DEP_3)
	v_fma_f64 v[136:137], v[162:163], s[8:9], v[160:161]
	v_fma_f64 v[160:161], v[162:163], s[12:13], v[160:161]
	;; [unrolled: 1-line block ×4, first 2 shown]
	s_delay_alu instid0(VALU_DEP_4) | instskip(NEXT) | instid1(VALU_DEP_4)
	v_fma_f64 v[136:137], v[180:181], s[0:1], v[136:137]
	v_fma_f64 v[160:161], v[180:181], s[2:3], v[160:161]
	s_delay_alu instid0(VALU_DEP_4) | instskip(NEXT) | instid1(VALU_DEP_4)
	v_fma_f64 v[138:139], v[186:187], s[2:3], v[138:139]
	v_fma_f64 v[182:183], v[186:187], s[0:1], v[182:183]
	;; [unrolled: 3-line block ×3, first 2 shown]
	v_add_f64_e32 v[160:161], v[144:145], v[156:157]
	v_fma_f64 v[138:139], v[142:143], s[14:15], v[138:139]
	v_fma_f64 v[142:143], v[142:143], s[14:15], v[182:183]
	v_add_f64_e32 v[182:183], v[146:147], v[158:159]
	s_delay_alu instid0(VALU_DEP_4) | instskip(SKIP_2) | instid1(VALU_DEP_4)
	v_fma_f64 v[160:161], v[160:161], -0.5, v[132:133]
	v_add_f64_e32 v[132:133], v[132:133], v[144:145]
	v_add_f64_e64 v[144:145], v[148:149], -v[144:145]
	v_fma_f64 v[182:183], v[182:183], -0.5, v[134:135]
	v_add_f64_e32 v[134:135], v[134:135], v[146:147]
	v_add_f64_e64 v[146:147], v[150:151], -v[146:147]
	v_add_f64_e32 v[132:133], v[132:133], v[148:149]
	v_fma_f64 v[148:149], v[180:181], s[12:13], v[160:161]
	v_fma_f64 v[160:161], v[180:181], s[8:9], v[160:161]
	v_add_f64_e32 v[134:135], v[134:135], v[150:151]
	v_add_f64_e64 v[150:151], v[154:155], -v[158:159]
	v_add_f64_e32 v[132:133], v[132:133], v[152:153]
	v_add_f64_e64 v[152:153], v[152:153], -v[156:157]
	s_delay_alu instid0(VALU_DEP_4)
	v_add_f64_e32 v[134:135], v[134:135], v[154:155]
	v_fma_f64 v[154:155], v[186:187], s[8:9], v[182:183]
	v_add_f64_e32 v[150:151], v[146:147], v[150:151]
	v_add_f64_e32 v[132:133], v[132:133], v[156:157]
	v_fma_f64 v[156:157], v[186:187], s[12:13], v[182:183]
	v_add_f64_e32 v[152:153], v[144:145], v[152:153]
	v_fma_f64 v[144:145], v[162:163], s[0:1], v[148:149]
	v_fma_f64 v[148:149], v[162:163], s[2:3], v[160:161]
	;; [unrolled: 1-line block ×3, first 2 shown]
	v_add_f64_e64 v[186:187], v[166:167], -v[178:179]
	v_add_f64_e32 v[134:135], v[134:135], v[158:159]
	v_fma_f64 v[154:155], v[184:185], s[0:1], v[156:157]
	v_add_f64_e32 v[156:157], v[164:165], v[176:177]
	v_fma_f64 v[144:145], v[152:153], s[14:15], v[144:145]
	v_fma_f64 v[148:149], v[152:153], s[14:15], v[148:149]
	;; [unrolled: 1-line block ×3, first 2 shown]
	v_add_f64_e64 v[152:153], v[168:169], -v[164:165]
	v_add_f64_e64 v[184:185], v[170:171], -v[174:175]
	v_fma_f64 v[150:151], v[150:151], s[14:15], v[154:155]
	v_add_f64_e64 v[154:155], v[172:173], -v[176:177]
	s_delay_alu instid0(VALU_DEP_1) | instskip(SKIP_2) | instid1(VALU_DEP_1)
	v_add_f64_e32 v[160:161], v[152:153], v[154:155]
	v_add_f64_e64 v[152:153], v[170:171], -v[166:167]
	v_add_f64_e64 v[154:155], v[174:175], -v[178:179]
	v_add_f64_e32 v[162:163], v[152:153], v[154:155]
	ds_load_b128 v[152:155], v196 offset:1760
	s_wait_dscnt 0x0
	v_fma_f64 v[180:181], v[156:157], -0.5, v[152:153]
	v_add_f64_e32 v[156:157], v[166:167], v[178:179]
	s_delay_alu instid0(VALU_DEP_1) | instskip(NEXT) | instid1(VALU_DEP_3)
	v_fma_f64 v[182:183], v[156:157], -0.5, v[154:155]
	v_fma_f64 v[156:157], v[184:185], s[12:13], v[180:181]
	v_fma_f64 v[180:181], v[184:185], s[8:9], v[180:181]
	s_delay_alu instid0(VALU_DEP_3) | instskip(SKIP_1) | instid1(VALU_DEP_4)
	v_fma_f64 v[158:159], v[188:189], s[8:9], v[182:183]
	v_fma_f64 v[182:183], v[188:189], s[12:13], v[182:183]
	;; [unrolled: 1-line block ×3, first 2 shown]
	s_delay_alu instid0(VALU_DEP_4) | instskip(NEXT) | instid1(VALU_DEP_4)
	v_fma_f64 v[180:181], v[186:187], s[2:3], v[180:181]
	v_fma_f64 v[158:159], v[190:191], s[2:3], v[158:159]
	s_delay_alu instid0(VALU_DEP_4) | instskip(NEXT) | instid1(VALU_DEP_4)
	v_fma_f64 v[182:183], v[190:191], s[0:1], v[182:183]
	v_fma_f64 v[156:157], v[160:161], s[14:15], v[156:157]
	s_delay_alu instid0(VALU_DEP_4) | instskip(SKIP_4) | instid1(VALU_DEP_4)
	v_fma_f64 v[160:161], v[160:161], s[14:15], v[180:181]
	v_add_f64_e32 v[180:181], v[168:169], v[172:173]
	v_fma_f64 v[158:159], v[162:163], s[14:15], v[158:159]
	v_fma_f64 v[162:163], v[162:163], s[14:15], v[182:183]
	v_add_f64_e32 v[182:183], v[170:171], v[174:175]
	v_fma_f64 v[180:181], v[180:181], -0.5, v[152:153]
	v_add_f64_e32 v[152:153], v[152:153], v[164:165]
	v_add_f64_e64 v[164:165], v[164:165], -v[168:169]
	s_delay_alu instid0(VALU_DEP_4) | instskip(SKIP_4) | instid1(VALU_DEP_4)
	v_fma_f64 v[182:183], v[182:183], -0.5, v[154:155]
	v_add_f64_e32 v[154:155], v[154:155], v[166:167]
	v_add_f64_e64 v[166:167], v[166:167], -v[170:171]
	v_add_f64_e32 v[152:153], v[152:153], v[168:169]
	v_add_f64_e64 v[168:169], v[176:177], -v[172:173]
	;; [unrolled: 2-line block ×3, first 2 shown]
	s_delay_alu instid0(VALU_DEP_4)
	v_add_f64_e32 v[152:153], v[152:153], v[172:173]
	v_fma_f64 v[172:173], v[186:187], s[8:9], v[180:181]
	v_add_f64_e32 v[168:169], v[164:165], v[168:169]
	v_add_f64_e32 v[154:155], v[154:155], v[174:175]
	v_fma_f64 v[174:175], v[186:187], s[12:13], v[180:181]
	v_add_f64_e32 v[152:153], v[152:153], v[176:177]
	v_fma_f64 v[176:177], v[190:191], s[12:13], v[182:183]
	;; [unrolled: 2-line block ×4, first 2 shown]
	v_fma_f64 v[172:173], v[184:185], s[2:3], v[174:175]
	v_fma_f64 v[166:167], v[188:189], s[2:3], v[176:177]
	;; [unrolled: 1-line block ×3, first 2 shown]
	s_delay_alu instid0(VALU_DEP_4) | instskip(NEXT) | instid1(VALU_DEP_4)
	v_fma_f64 v[174:175], v[188:189], s[0:1], v[178:179]
	v_fma_f64 v[168:169], v[168:169], s[14:15], v[172:173]
	s_delay_alu instid0(VALU_DEP_4) | instskip(NEXT) | instid1(VALU_DEP_3)
	v_fma_f64 v[166:167], v[170:171], s[14:15], v[166:167]
	v_fma_f64 v[170:171], v[170:171], s[14:15], v[174:175]
	ds_load_b128 v[172:175], v196 offset:3520
	ds_load_b128 v[176:179], v196 offset:2640
	global_wb scope:SCOPE_SE
	s_wait_dscnt 0x0
	s_barrier_signal -1
	s_barrier_wait -1
	global_inv scope:SCOPE_SE
	ds_store_b128 v196, v[88:91]
	ds_store_b128 v196, v[4:7] offset:880
	ds_store_b128 v196, v[96:99] offset:1760
	ds_store_b128 v196, v[92:95] offset:2640
	ds_store_b128 v196, v[0:3] offset:3520
	ds_store_b128 v196, v[132:135] offset:4400
	ds_store_b128 v196, v[136:139] offset:5280
	ds_store_b128 v196, v[144:147] offset:6160
	ds_store_b128 v196, v[148:151] offset:7040
	ds_store_b128 v196, v[140:143] offset:7920
	ds_store_b128 v197, v[152:155] offset:8800
	ds_store_b128 v197, v[164:167] offset:9680
	ds_store_b128 v197, v[156:159] offset:10560
	ds_store_b128 v197, v[160:163] offset:11440
	ds_store_b128 v197, v[168:171] offset:12320
	v_add_f64_e64 v[0:1], v[120:121], -v[118:119]
	v_add_f64_e64 v[2:3], v[126:127], -v[128:129]
	;; [unrolled: 1-line block ×6, first 2 shown]
	v_add_f64_e32 v[4:5], v[0:1], v[2:3]
	v_add_f64_e64 v[0:1], v[122:123], -v[116:117]
	v_add_f64_e64 v[2:3], v[124:125], -v[130:131]
	s_delay_alu instid0(VALU_DEP_1) | instskip(SKIP_1) | instid1(VALU_DEP_1)
	v_add_f64_e32 v[6:7], v[0:1], v[2:3]
	v_add_f64_e32 v[0:1], v[118:119], v[128:129]
	v_fma_f64 v[88:89], v[0:1], -0.5, v[176:177]
	v_add_f64_e32 v[0:1], v[116:117], v[130:131]
	s_delay_alu instid0(VALU_DEP_1) | instskip(NEXT) | instid1(VALU_DEP_3)
	v_fma_f64 v[90:91], v[0:1], -0.5, v[178:179]
	v_fma_f64 v[0:1], v[92:93], s[12:13], v[88:89]
	v_fma_f64 v[88:89], v[92:93], s[8:9], v[88:89]
	s_delay_alu instid0(VALU_DEP_3) | instskip(NEXT) | instid1(VALU_DEP_3)
	v_fma_f64 v[2:3], v[96:97], s[8:9], v[90:91]
	v_fma_f64 v[0:1], v[94:95], s[0:1], v[0:1]
	s_delay_alu instid0(VALU_DEP_3) | instskip(SKIP_1) | instid1(VALU_DEP_4)
	v_fma_f64 v[88:89], v[94:95], s[2:3], v[88:89]
	v_fma_f64 v[90:91], v[96:97], s[12:13], v[90:91]
	;; [unrolled: 1-line block ×3, first 2 shown]
	s_delay_alu instid0(VALU_DEP_4) | instskip(NEXT) | instid1(VALU_DEP_4)
	v_fma_f64 v[0:1], v[4:5], s[14:15], v[0:1]
	v_fma_f64 v[4:5], v[4:5], s[14:15], v[88:89]
	v_add_f64_e32 v[88:89], v[120:121], v[126:127]
	v_fma_f64 v[90:91], v[98:99], s[0:1], v[90:91]
	v_fma_f64 v[2:3], v[6:7], s[14:15], v[2:3]
	s_delay_alu instid0(VALU_DEP_3) | instskip(SKIP_1) | instid1(VALU_DEP_4)
	v_fma_f64 v[132:133], v[88:89], -0.5, v[176:177]
	v_add_f64_e32 v[88:89], v[122:123], v[124:125]
	v_fma_f64 v[6:7], v[6:7], s[14:15], v[90:91]
	v_add_f64_e32 v[90:91], v[178:179], v[116:117]
	v_add_f64_e64 v[116:117], v[116:117], -v[122:123]
	s_delay_alu instid0(VALU_DEP_4) | instskip(SKIP_1) | instid1(VALU_DEP_4)
	v_fma_f64 v[134:135], v[88:89], -0.5, v[178:179]
	v_add_f64_e32 v[88:89], v[176:177], v[118:119]
	v_add_f64_e32 v[90:91], v[90:91], v[122:123]
	v_add_f64_e64 v[118:119], v[118:119], -v[120:121]
	v_add_f64_e64 v[122:123], v[130:131], -v[124:125]
	s_delay_alu instid0(VALU_DEP_4) | instskip(NEXT) | instid1(VALU_DEP_4)
	v_add_f64_e32 v[88:89], v[88:89], v[120:121]
	v_add_f64_e32 v[90:91], v[90:91], v[124:125]
	v_add_f64_e64 v[120:121], v[128:129], -v[126:127]
	v_fma_f64 v[124:125], v[94:95], s[8:9], v[132:133]
	v_fma_f64 v[94:95], v[94:95], s[12:13], v[132:133]
	v_add_f64_e32 v[116:117], v[116:117], v[122:123]
	v_add_f64_e32 v[88:89], v[88:89], v[126:127]
	v_fma_f64 v[126:127], v[98:99], s[12:13], v[134:135]
	v_fma_f64 v[98:99], v[98:99], s[8:9], v[134:135]
	v_add_f64_e32 v[118:119], v[118:119], v[120:121]
	v_fma_f64 v[122:123], v[92:93], s[2:3], v[94:95]
	v_fma_f64 v[120:121], v[92:93], s[0:1], v[124:125]
	v_add_f64_e32 v[90:91], v[90:91], v[130:131]
	v_add_f64_e32 v[88:89], v[88:89], v[128:129]
	v_fma_f64 v[94:95], v[96:97], s[2:3], v[126:127]
	v_fma_f64 v[98:99], v[96:97], s[0:1], v[98:99]
	;; [unrolled: 1-line block ×4, first 2 shown]
	v_add_f64_e32 v[118:119], v[174:175], v[100:101]
	v_fma_f64 v[94:95], v[116:117], s[14:15], v[94:95]
	v_fma_f64 v[98:99], v[116:117], s[14:15], v[98:99]
	scratch_load_b32 v116, off, off offset:952 th:TH_LOAD_LU ; 4-byte Folded Reload
	s_wait_loadcnt 0x0
	ds_store_b128 v116, v[88:91] offset:13200
	ds_store_b128 v116, v[92:95] offset:14080
	;; [unrolled: 1-line block ×5, first 2 shown]
	v_add_f64_e64 v[0:1], v[110:111], -v[104:105]
	v_add_f64_e64 v[2:3], v[108:109], -v[114:115]
	;; [unrolled: 1-line block ×6, first 2 shown]
	v_add_f64_e32 v[116:117], v[172:173], v[104:105]
	v_add_f64_e32 v[4:5], v[0:1], v[2:3]
	v_add_f64_e64 v[0:1], v[102:103], -v[100:101]
	v_add_f64_e64 v[2:3], v[106:107], -v[112:113]
	s_delay_alu instid0(VALU_DEP_4) | instskip(NEXT) | instid1(VALU_DEP_2)
	v_add_f64_e32 v[116:117], v[116:117], v[110:111]
	v_add_f64_e32 v[6:7], v[0:1], v[2:3]
	;; [unrolled: 1-line block ×4, first 2 shown]
	v_add_f64_e64 v[104:105], v[104:105], -v[110:111]
	v_add_f64_e64 v[100:101], v[100:101], -v[102:103]
	s_delay_alu instid0(VALU_DEP_4) | instskip(NEXT) | instid1(VALU_DEP_4)
	v_fma_f64 v[88:89], v[0:1], -0.5, v[172:173]
	v_fma_f64 v[94:95], v[2:3], -0.5, v[174:175]
	s_delay_alu instid0(VALU_DEP_2) | instskip(SKIP_1) | instid1(VALU_DEP_3)
	v_fma_f64 v[0:1], v[92:93], s[12:13], v[88:89]
	v_fma_f64 v[88:89], v[92:93], s[8:9], v[88:89]
	;; [unrolled: 1-line block ×4, first 2 shown]
	s_delay_alu instid0(VALU_DEP_4) | instskip(NEXT) | instid1(VALU_DEP_4)
	v_fma_f64 v[0:1], v[90:91], s[0:1], v[0:1]
	v_fma_f64 v[88:89], v[90:91], s[2:3], v[88:89]
	s_delay_alu instid0(VALU_DEP_4) | instskip(NEXT) | instid1(VALU_DEP_4)
	v_fma_f64 v[2:3], v[98:99], s[2:3], v[2:3]
	v_fma_f64 v[94:95], v[98:99], s[0:1], v[94:95]
	s_delay_alu instid0(VALU_DEP_4) | instskip(NEXT) | instid1(VALU_DEP_4)
	v_fma_f64 v[0:1], v[4:5], s[14:15], v[0:1]
	v_fma_f64 v[4:5], v[4:5], s[14:15], v[88:89]
	v_add_f64_e32 v[88:89], v[110:111], v[108:109]
	v_fma_f64 v[2:3], v[6:7], s[14:15], v[2:3]
	v_fma_f64 v[6:7], v[6:7], s[14:15], v[94:95]
	v_add_f64_e32 v[94:95], v[102:103], v[106:107]
	s_delay_alu instid0(VALU_DEP_4) | instskip(NEXT) | instid1(VALU_DEP_2)
	v_fma_f64 v[88:89], v[88:89], -0.5, v[172:173]
	v_fma_f64 v[94:95], v[94:95], -0.5, v[174:175]
	s_delay_alu instid0(VALU_DEP_2)
	v_fma_f64 v[110:111], v[90:91], s[8:9], v[88:89]
	v_fma_f64 v[120:121], v[90:91], s[12:13], v[88:89]
	v_add_f64_e32 v[88:89], v[118:119], v[102:103]
	v_add_f64_e32 v[90:91], v[116:117], v[108:109]
	v_add_f64_e64 v[108:109], v[114:115], -v[108:109]
	v_add_f64_e64 v[102:103], v[112:113], -v[106:107]
	s_delay_alu instid0(VALU_DEP_4)
	v_add_f64_e32 v[116:117], v[88:89], v[106:107]
	v_fma_f64 v[106:107], v[98:99], s[12:13], v[94:95]
	v_fma_f64 v[94:95], v[98:99], s[8:9], v[94:95]
	v_add_f64_e32 v[98:99], v[104:105], v[108:109]
	v_fma_f64 v[104:105], v[92:93], s[0:1], v[110:111]
	v_fma_f64 v[108:109], v[92:93], s[2:3], v[120:121]
	v_add_f64_e32 v[100:101], v[100:101], v[102:103]
	v_add_f64_e32 v[88:89], v[90:91], v[114:115]
	;; [unrolled: 1-line block ×3, first 2 shown]
	v_fma_f64 v[102:103], v[96:97], s[2:3], v[106:107]
	v_fma_f64 v[106:107], v[96:97], s[0:1], v[94:95]
	;; [unrolled: 1-line block ×4, first 2 shown]
	s_delay_alu instid0(VALU_DEP_4) | instskip(NEXT) | instid1(VALU_DEP_4)
	v_fma_f64 v[94:95], v[100:101], s[14:15], v[102:103]
	v_fma_f64 v[98:99], v[100:101], s[14:15], v[106:107]
	scratch_load_b32 v100, off, off offset:956 th:TH_LOAD_LU ; 4-byte Folded Reload
	s_wait_loadcnt 0x0
	ds_store_b128 v100, v[88:91] offset:17600
	ds_store_b128 v100, v[92:95] offset:18480
	;; [unrolled: 1-line block ×5, first 2 shown]
	global_wb scope:SCOPE_SE
	s_wait_dscnt 0x0
	s_barrier_signal -1
	s_barrier_wait -1
	global_inv scope:SCOPE_SE
	ds_load_b128 v[0:3], v196 offset:8800
	s_wait_dscnt 0x0
	v_mul_f64_e32 v[4:5], v[54:55], v[2:3]
	s_delay_alu instid0(VALU_DEP_1) | instskip(SKIP_1) | instid1(VALU_DEP_1)
	v_fma_f64 v[4:5], v[52:53], v[0:1], v[4:5]
	v_mul_f64_e32 v[0:1], v[54:55], v[0:1]
	v_fma_f64 v[6:7], v[52:53], v[2:3], -v[0:1]
	ds_load_b128 v[0:3], v196 offset:13200
	s_wait_dscnt 0x0
	v_mul_f64_e32 v[52:53], v[50:51], v[2:3]
	s_delay_alu instid0(VALU_DEP_1) | instskip(SKIP_1) | instid1(VALU_DEP_1)
	v_fma_f64 v[100:101], v[48:49], v[0:1], v[52:53]
	v_mul_f64_e32 v[0:1], v[50:51], v[0:1]
	v_fma_f64 v[102:103], v[48:49], v[2:3], -v[0:1]
	;; [unrolled: 7-line block ×9, first 2 shown]
	ds_load_b128 v[0:3], v196 offset:10560
	s_wait_dscnt 0x0
	v_mul_f64_e32 v[12:13], v[78:79], v[2:3]
	s_delay_alu instid0(VALU_DEP_1) | instskip(SKIP_2) | instid1(VALU_DEP_2)
	v_fma_f64 v[48:49], v[76:77], v[0:1], v[12:13]
	v_mul_f64_e32 v[0:1], v[78:79], v[0:1]
	v_add_f64_e64 v[78:79], v[4:5], -v[100:101]
	v_fma_f64 v[44:45], v[76:77], v[2:3], -v[0:1]
	ds_load_b128 v[0:3], v196 offset:14960
	v_add_f64_e64 v[76:77], v[104:105], -v[108:109]
	s_wait_dscnt 0x0
	v_mul_f64_e32 v[12:13], v[74:75], v[2:3]
	s_delay_alu instid0(VALU_DEP_1) | instskip(SKIP_1) | instid1(VALU_DEP_2)
	v_fma_f64 v[54:55], v[72:73], v[0:1], v[12:13]
	v_mul_f64_e32 v[0:1], v[74:75], v[0:1]
	v_add_f64_e64 v[114:115], v[48:49], -v[54:55]
	s_delay_alu instid0(VALU_DEP_2) | instskip(SKIP_3) | instid1(VALU_DEP_1)
	v_fma_f64 v[72:73], v[72:73], v[2:3], -v[0:1]
	ds_load_b128 v[0:3], v196 offset:19360
	s_wait_dscnt 0x0
	v_mul_f64_e32 v[12:13], v[70:71], v[2:3]
	v_fma_f64 v[74:75], v[68:69], v[0:1], v[12:13]
	v_mul_f64_e32 v[0:1], v[70:71], v[0:1]
	v_add_f64_e64 v[70:71], v[6:7], -v[102:103]
	s_delay_alu instid0(VALU_DEP_3) | instskip(NEXT) | instid1(VALU_DEP_3)
	v_add_f64_e64 v[112:113], v[34:35], -v[74:75]
	v_fma_f64 v[68:69], v[68:69], v[2:3], -v[0:1]
	ds_load_b128 v[0:3], v196 offset:7040
	s_wait_dscnt 0x0
	v_mul_f64_e32 v[12:13], v[66:67], v[2:3]
	s_delay_alu instid0(VALU_DEP_1) | instskip(SKIP_1) | instid1(VALU_DEP_1)
	v_fma_f64 v[20:21], v[64:65], v[0:1], v[12:13]
	v_mul_f64_e32 v[0:1], v[66:67], v[0:1]
	v_fma_f64 v[22:23], v[64:65], v[2:3], -v[0:1]
	ds_load_b128 v[0:3], v196 offset:11440
	s_wait_dscnt 0x0
	v_mul_f64_e32 v[12:13], v[86:87], v[2:3]
	s_delay_alu instid0(VALU_DEP_1) | instskip(SKIP_1) | instid1(VALU_DEP_1)
	v_fma_f64 v[46:47], v[84:85], v[0:1], v[12:13]
	v_mul_f64_e32 v[0:1], v[86:87], v[0:1]
	v_fma_f64 v[40:41], v[84:85], v[2:3], -v[0:1]
	ds_load_b128 v[0:3], v196 offset:15840
	v_add_f64_e64 v[84:85], v[100:101], -v[108:109]
	s_wait_dscnt 0x0
	v_mul_f64_e32 v[12:13], v[82:83], v[2:3]
	s_delay_alu instid0(VALU_DEP_1) | instskip(SKIP_1) | instid1(VALU_DEP_2)
	v_fma_f64 v[42:43], v[80:81], v[0:1], v[12:13]
	v_mul_f64_e32 v[0:1], v[82:83], v[0:1]
	v_add_f64_e64 v[118:119], v[46:47], -v[42:43]
	s_delay_alu instid0(VALU_DEP_2) | instskip(SKIP_3) | instid1(VALU_DEP_1)
	v_fma_f64 v[64:65], v[80:81], v[2:3], -v[0:1]
	ds_load_b128 v[0:3], v196 offset:20240
	s_wait_dscnt 0x0
	v_mul_f64_e32 v[12:13], v[58:59], v[2:3]
	v_fma_f64 v[66:67], v[56:57], v[0:1], v[12:13]
	v_mul_f64_e32 v[0:1], v[58:59], v[0:1]
	s_delay_alu instid0(VALU_DEP_2) | instskip(NEXT) | instid1(VALU_DEP_2)
	v_add_f64_e64 v[116:117], v[20:21], -v[66:67]
	v_fma_f64 v[56:57], v[56:57], v[2:3], -v[0:1]
	ds_load_b128 v[0:3], v196 offset:7920
	s_wait_dscnt 0x0
	v_mul_f64_e32 v[12:13], v[62:63], v[2:3]
	s_delay_alu instid0(VALU_DEP_1) | instskip(SKIP_2) | instid1(VALU_DEP_2)
	v_fma_f64 v[52:53], v[60:61], v[0:1], v[12:13]
	v_mul_f64_e32 v[0:1], v[62:63], v[0:1]
	v_add_f64_e64 v[62:63], v[106:107], -v[110:111]
	v_fma_f64 v[50:51], v[60:61], v[2:3], -v[0:1]
	ds_load_b128 v[0:3], v196 offset:12320
	s_wait_dscnt 0x0
	v_mul_f64_e32 v[12:13], v[38:39], v[2:3]
	s_delay_alu instid0(VALU_DEP_1) | instskip(SKIP_1) | instid1(VALU_DEP_1)
	v_fma_f64 v[58:59], v[36:37], v[0:1], v[12:13]
	v_mul_f64_e32 v[0:1], v[38:39], v[0:1]
	v_fma_f64 v[36:37], v[36:37], v[2:3], -v[0:1]
	ds_load_b128 v[0:3], v196 offset:16720
	s_wait_dscnt 0x0
	v_mul_f64_e32 v[12:13], v[26:27], v[2:3]
	s_delay_alu instid0(VALU_DEP_1) | instskip(SKIP_1) | instid1(VALU_DEP_1)
	v_fma_f64 v[38:39], v[24:25], v[0:1], v[12:13]
	v_mul_f64_e32 v[0:1], v[26:27], v[0:1]
	v_fma_f64 v[24:25], v[24:25], v[2:3], -v[0:1]
	ds_load_b128 v[0:3], v196 offset:21120
	s_wait_dscnt 0x0
	v_mul_f64_e32 v[12:13], v[10:11], v[2:3]
	s_delay_alu instid0(VALU_DEP_1)
	v_fma_f64 v[26:27], v[8:9], v[0:1], v[12:13]
	v_mul_f64_e32 v[0:1], v[10:11], v[0:1]
	ds_load_b128 v[12:15], v196
	v_fma_f64 v[60:61], v[8:9], v[2:3], -v[0:1]
	v_add_f64_e64 v[0:1], v[104:105], -v[4:5]
	v_add_f64_e64 v[2:3], v[108:109], -v[100:101]
	s_delay_alu instid0(VALU_DEP_1) | instskip(SKIP_2) | instid1(VALU_DEP_1)
	v_add_f64_e32 v[8:9], v[0:1], v[2:3]
	v_add_f64_e64 v[0:1], v[106:107], -v[6:7]
	v_add_f64_e64 v[2:3], v[110:111], -v[102:103]
	v_add_f64_e32 v[10:11], v[0:1], v[2:3]
	v_add_f64_e32 v[0:1], v[4:5], v[100:101]
	s_wait_dscnt 0x0
	s_delay_alu instid0(VALU_DEP_1) | instskip(SKIP_1) | instid1(VALU_DEP_1)
	v_fma_f64 v[16:17], v[0:1], -0.5, v[12:13]
	v_add_f64_e32 v[0:1], v[6:7], v[102:103]
	v_fma_f64 v[18:19], v[0:1], -0.5, v[14:15]
	s_delay_alu instid0(VALU_DEP_3) | instskip(SKIP_1) | instid1(VALU_DEP_3)
	v_fma_f64 v[0:1], v[62:63], s[8:9], v[16:17]
	v_fma_f64 v[16:17], v[62:63], s[12:13], v[16:17]
	v_fma_f64 v[2:3], v[76:77], s[12:13], v[18:19]
	v_fma_f64 v[18:19], v[76:77], s[8:9], v[18:19]
	s_delay_alu instid0(VALU_DEP_4) | instskip(NEXT) | instid1(VALU_DEP_4)
	v_fma_f64 v[0:1], v[70:71], s[0:1], v[0:1]
	v_fma_f64 v[16:17], v[70:71], s[2:3], v[16:17]
	s_delay_alu instid0(VALU_DEP_4) | instskip(NEXT) | instid1(VALU_DEP_4)
	v_fma_f64 v[2:3], v[78:79], s[2:3], v[2:3]
	v_fma_f64 v[18:19], v[78:79], s[0:1], v[18:19]
	;; [unrolled: 3-line block ×3, first 2 shown]
	v_add_f64_e32 v[16:17], v[104:105], v[108:109]
	v_fma_f64 v[2:3], v[10:11], s[14:15], v[2:3]
	v_fma_f64 v[10:11], v[10:11], s[14:15], v[18:19]
	v_add_f64_e32 v[18:19], v[106:107], v[110:111]
	s_delay_alu instid0(VALU_DEP_4) | instskip(SKIP_1) | instid1(VALU_DEP_3)
	v_fma_f64 v[16:17], v[16:17], -0.5, v[12:13]
	v_add_f64_e32 v[12:13], v[12:13], v[104:105]
	v_fma_f64 v[80:81], v[18:19], -0.5, v[14:15]
	v_add_f64_e32 v[14:15], v[14:15], v[106:107]
	s_delay_alu instid0(VALU_DEP_4) | instskip(NEXT) | instid1(VALU_DEP_4)
	v_fma_f64 v[82:83], v[70:71], s[12:13], v[16:17]
	v_add_f64_e32 v[12:13], v[12:13], v[4:5]
	v_add_f64_e64 v[4:5], v[4:5], -v[104:105]
	v_fma_f64 v[70:71], v[70:71], s[8:9], v[16:17]
	v_add_f64_e64 v[104:105], v[32:33], -v[96:97]
	v_add_f64_e32 v[14:15], v[14:15], v[6:7]
	v_add_f64_e64 v[6:7], v[6:7], -v[106:107]
	v_add_f64_e32 v[12:13], v[12:13], v[100:101]
	v_add_f64_e32 v[4:5], v[4:5], v[84:85]
	v_add_f64_e64 v[100:101], v[28:29], -v[98:99]
	v_add_f64_e64 v[106:107], v[94:95], -v[92:93]
	v_add_f64_e32 v[14:15], v[14:15], v[102:103]
	v_add_f64_e32 v[16:17], v[12:13], v[108:109]
	v_add_f64_e64 v[12:13], v[102:103], -v[110:111]
	v_add_f64_e64 v[102:103], v[88:89], -v[90:91]
	;; [unrolled: 1-line block ×3, first 2 shown]
	v_add_f64_e32 v[18:19], v[14:15], v[110:111]
	v_fma_f64 v[14:15], v[78:79], s[8:9], v[80:81]
	v_fma_f64 v[78:79], v[78:79], s[12:13], v[80:81]
	;; [unrolled: 1-line block ×4, first 2 shown]
	v_add_f64_e32 v[6:7], v[6:7], v[12:13]
	v_add_f64_e64 v[110:111], v[44:45], -v[72:73]
	v_fma_f64 v[14:15], v[76:77], s[2:3], v[14:15]
	v_fma_f64 v[70:71], v[76:77], s[0:1], v[78:79]
	;; [unrolled: 1-line block ×4, first 2 shown]
	v_add_f64_e64 v[62:63], v[32:33], -v[94:95]
	v_add_f64_e64 v[76:77], v[98:99], -v[90:91]
	v_add_f64_e32 v[80:81], v[94:95], v[92:93]
	v_fma_f64 v[14:15], v[6:7], s[14:15], v[14:15]
	v_fma_f64 v[6:7], v[6:7], s[14:15], v[70:71]
	v_add_f64_e64 v[70:71], v[96:97], -v[92:93]
	s_delay_alu instid0(VALU_DEP_1) | instskip(SKIP_1) | instid1(VALU_DEP_1)
	v_add_f64_e32 v[62:63], v[62:63], v[70:71]
	v_add_f64_e64 v[70:71], v[28:29], -v[88:89]
	v_add_f64_e32 v[70:71], v[70:71], v[76:77]
	ds_load_b128 v[76:79], v196 offset:880
	s_wait_dscnt 0x0
	v_fma_f64 v[84:85], v[80:81], -0.5, v[76:77]
	v_add_f64_e32 v[80:81], v[88:89], v[90:91]
	s_delay_alu instid0(VALU_DEP_1) | instskip(NEXT) | instid1(VALU_DEP_3)
	v_fma_f64 v[86:87], v[80:81], -0.5, v[78:79]
	v_fma_f64 v[80:81], v[100:101], s[8:9], v[84:85]
	v_fma_f64 v[84:85], v[100:101], s[12:13], v[84:85]
	s_delay_alu instid0(VALU_DEP_3) | instskip(SKIP_1) | instid1(VALU_DEP_4)
	v_fma_f64 v[82:83], v[104:105], s[12:13], v[86:87]
	v_fma_f64 v[86:87], v[104:105], s[8:9], v[86:87]
	;; [unrolled: 1-line block ×3, first 2 shown]
	s_delay_alu instid0(VALU_DEP_4) | instskip(NEXT) | instid1(VALU_DEP_4)
	v_fma_f64 v[84:85], v[102:103], s[2:3], v[84:85]
	v_fma_f64 v[82:83], v[106:107], s[2:3], v[82:83]
	s_delay_alu instid0(VALU_DEP_4) | instskip(NEXT) | instid1(VALU_DEP_4)
	v_fma_f64 v[86:87], v[106:107], s[0:1], v[86:87]
	v_fma_f64 v[80:81], v[62:63], s[14:15], v[80:81]
	s_delay_alu instid0(VALU_DEP_4) | instskip(SKIP_4) | instid1(VALU_DEP_4)
	v_fma_f64 v[84:85], v[62:63], s[14:15], v[84:85]
	v_add_f64_e32 v[62:63], v[32:33], v[96:97]
	v_fma_f64 v[82:83], v[70:71], s[14:15], v[82:83]
	v_fma_f64 v[86:87], v[70:71], s[14:15], v[86:87]
	v_add_f64_e32 v[70:71], v[28:29], v[98:99]
	v_fma_f64 v[62:63], v[62:63], -0.5, v[76:77]
	v_add_f64_e32 v[76:77], v[76:77], v[32:33]
	v_add_f64_e64 v[32:33], v[94:95], -v[32:33]
	s_delay_alu instid0(VALU_DEP_4)
	v_fma_f64 v[70:71], v[70:71], -0.5, v[78:79]
	v_add_f64_e32 v[78:79], v[78:79], v[28:29]
	v_add_f64_e64 v[28:29], v[88:89], -v[28:29]
	v_add_f64_e32 v[76:77], v[76:77], v[94:95]
	v_fma_f64 v[94:95], v[102:103], s[12:13], v[62:63]
	v_fma_f64 v[62:63], v[102:103], s[8:9], v[62:63]
	v_add_f64_e32 v[78:79], v[78:79], v[88:89]
	v_add_f64_e64 v[88:89], v[92:93], -v[96:97]
	v_add_f64_e32 v[76:77], v[76:77], v[92:93]
	v_fma_f64 v[92:93], v[106:107], s[8:9], v[70:71]
	v_fma_f64 v[70:71], v[106:107], s[12:13], v[70:71]
	v_fma_f64 v[62:63], v[100:101], s[2:3], v[62:63]
	v_add_f64_e32 v[78:79], v[78:79], v[90:91]
	v_add_f64_e64 v[90:91], v[90:91], -v[98:99]
	v_add_f64_e32 v[32:33], v[32:33], v[88:89]
	v_fma_f64 v[88:89], v[100:101], s[0:1], v[94:95]
	v_fma_f64 v[70:71], v[104:105], s[0:1], v[70:71]
	v_add_f64_e32 v[76:77], v[76:77], v[96:97]
	v_add_f64_e32 v[78:79], v[78:79], v[98:99]
	;; [unrolled: 1-line block ×3, first 2 shown]
	v_fma_f64 v[90:91], v[104:105], s[2:3], v[92:93]
	v_fma_f64 v[88:89], v[32:33], s[14:15], v[88:89]
	;; [unrolled: 1-line block ×3, first 2 shown]
	v_add_f64_e64 v[32:33], v[74:75], -v[54:55]
	v_add_f64_e64 v[62:63], v[68:69], -v[72:73]
	ds_load_b128 v[96:99], v196 offset:1760
	v_fma_f64 v[94:95], v[28:29], s[14:15], v[70:71]
	v_fma_f64 v[90:91], v[28:29], s[14:15], v[90:91]
	v_add_f64_e64 v[28:29], v[34:35], -v[48:49]
	v_add_f64_e32 v[70:71], v[44:45], v[72:73]
	s_delay_alu instid0(VALU_DEP_2) | instskip(SKIP_2) | instid1(VALU_DEP_3)
	v_add_f64_e32 v[28:29], v[28:29], v[32:33]
	v_add_f64_e64 v[32:33], v[30:31], -v[44:45]
	s_wait_dscnt 0x0
	v_fma_f64 v[70:71], v[70:71], -0.5, v[98:99]
	s_delay_alu instid0(VALU_DEP_2) | instskip(SKIP_1) | instid1(VALU_DEP_3)
	v_add_f64_e32 v[32:33], v[32:33], v[62:63]
	v_add_f64_e32 v[62:63], v[48:49], v[54:55]
	v_fma_f64 v[102:103], v[112:113], s[12:13], v[70:71]
	v_fma_f64 v[70:71], v[112:113], s[8:9], v[70:71]
	s_delay_alu instid0(VALU_DEP_3) | instskip(NEXT) | instid1(VALU_DEP_3)
	v_fma_f64 v[62:63], v[62:63], -0.5, v[96:97]
	v_fma_f64 v[102:103], v[114:115], s[2:3], v[102:103]
	s_delay_alu instid0(VALU_DEP_3) | instskip(NEXT) | instid1(VALU_DEP_3)
	v_fma_f64 v[70:71], v[114:115], s[0:1], v[70:71]
	v_fma_f64 v[100:101], v[108:109], s[8:9], v[62:63]
	;; [unrolled: 1-line block ×3, first 2 shown]
	s_delay_alu instid0(VALU_DEP_3)
	v_fma_f64 v[106:107], v[32:33], s[14:15], v[70:71]
	v_add_f64_e32 v[70:71], v[98:99], v[30:31]
	v_fma_f64 v[102:103], v[32:33], s[14:15], v[102:103]
	v_add_f64_e32 v[32:33], v[30:31], v[68:69]
	v_fma_f64 v[100:101], v[110:111], s[0:1], v[100:101]
	v_fma_f64 v[62:63], v[110:111], s[2:3], v[62:63]
	s_delay_alu instid0(VALU_DEP_3) | instskip(NEXT) | instid1(VALU_DEP_3)
	v_fma_f64 v[32:33], v[32:33], -0.5, v[98:99]
	v_fma_f64 v[100:101], v[28:29], s[14:15], v[100:101]
	s_delay_alu instid0(VALU_DEP_3) | instskip(SKIP_3) | instid1(VALU_DEP_3)
	v_fma_f64 v[104:105], v[28:29], s[14:15], v[62:63]
	v_add_f64_e32 v[28:29], v[34:35], v[74:75]
	v_add_f64_e32 v[62:63], v[96:97], v[34:35]
	v_add_f64_e64 v[34:35], v[48:49], -v[34:35]
	v_fma_f64 v[28:29], v[28:29], -0.5, v[96:97]
	s_delay_alu instid0(VALU_DEP_3) | instskip(NEXT) | instid1(VALU_DEP_2)
	v_add_f64_e32 v[62:63], v[62:63], v[48:49]
	v_fma_f64 v[48:49], v[110:111], s[12:13], v[28:29]
	v_fma_f64 v[96:97], v[110:111], s[8:9], v[28:29]
	v_add_f64_e32 v[28:29], v[70:71], v[44:45]
	v_add_f64_e64 v[44:45], v[44:45], -v[30:31]
	v_add_f64_e32 v[30:31], v[62:63], v[54:55]
	v_add_f64_e64 v[54:55], v[54:55], -v[74:75]
	s_delay_alu instid0(VALU_DEP_4) | instskip(NEXT) | instid1(VALU_DEP_3)
	v_add_f64_e32 v[62:63], v[28:29], v[72:73]
	v_add_f64_e32 v[28:29], v[30:31], v[74:75]
	s_delay_alu instid0(VALU_DEP_3)
	v_add_f64_e32 v[54:55], v[34:35], v[54:55]
	v_fma_f64 v[34:35], v[108:109], s[0:1], v[48:49]
	v_fma_f64 v[48:49], v[108:109], s[2:3], v[96:97]
	v_add_f64_e32 v[30:31], v[62:63], v[68:69]
	v_add_f64_e64 v[62:63], v[72:73], -v[68:69]
	v_fma_f64 v[68:69], v[114:115], s[8:9], v[32:33]
	v_fma_f64 v[32:33], v[114:115], s[12:13], v[32:33]
	ds_load_b128 v[72:75], v196 offset:2640
	v_add_f64_e64 v[114:115], v[40:41], -v[64:65]
	v_add_f64_e32 v[44:45], v[44:45], v[62:63]
	v_fma_f64 v[62:63], v[112:113], s[2:3], v[68:69]
	v_fma_f64 v[70:71], v[112:113], s[0:1], v[32:33]
	v_fma_f64 v[32:33], v[54:55], s[14:15], v[34:35]
	v_fma_f64 v[68:69], v[54:55], s[14:15], v[48:49]
	v_add_f64_e64 v[48:49], v[66:67], -v[42:43]
	v_add_f64_e64 v[54:55], v[56:57], -v[64:65]
	;; [unrolled: 1-line block ×3, first 2 shown]
	v_fma_f64 v[34:35], v[44:45], s[14:15], v[62:63]
	v_fma_f64 v[70:71], v[44:45], s[14:15], v[70:71]
	v_add_f64_e64 v[44:45], v[20:21], -v[46:47]
	v_add_f64_e32 v[62:63], v[40:41], v[64:65]
	s_delay_alu instid0(VALU_DEP_2) | instskip(SKIP_2) | instid1(VALU_DEP_3)
	v_add_f64_e32 v[44:45], v[44:45], v[48:49]
	v_add_f64_e64 v[48:49], v[22:23], -v[40:41]
	s_wait_dscnt 0x0
	v_fma_f64 v[62:63], v[62:63], -0.5, v[74:75]
	s_delay_alu instid0(VALU_DEP_2) | instskip(SKIP_1) | instid1(VALU_DEP_3)
	v_add_f64_e32 v[48:49], v[48:49], v[54:55]
	v_add_f64_e32 v[54:55], v[46:47], v[42:43]
	v_fma_f64 v[98:99], v[116:117], s[12:13], v[62:63]
	v_fma_f64 v[62:63], v[116:117], s[8:9], v[62:63]
	s_delay_alu instid0(VALU_DEP_3) | instskip(NEXT) | instid1(VALU_DEP_3)
	v_fma_f64 v[54:55], v[54:55], -0.5, v[72:73]
	v_fma_f64 v[98:99], v[118:119], s[2:3], v[98:99]
	s_delay_alu instid0(VALU_DEP_3) | instskip(NEXT) | instid1(VALU_DEP_3)
	v_fma_f64 v[62:63], v[118:119], s[0:1], v[62:63]
	v_fma_f64 v[96:97], v[112:113], s[8:9], v[54:55]
	;; [unrolled: 1-line block ×3, first 2 shown]
	s_delay_alu instid0(VALU_DEP_3)
	v_fma_f64 v[110:111], v[48:49], s[14:15], v[62:63]
	v_add_f64_e32 v[62:63], v[74:75], v[22:23]
	v_fma_f64 v[98:99], v[48:49], s[14:15], v[98:99]
	v_add_f64_e32 v[48:49], v[22:23], v[56:57]
	v_fma_f64 v[96:97], v[114:115], s[0:1], v[96:97]
	v_fma_f64 v[54:55], v[114:115], s[2:3], v[54:55]
	s_delay_alu instid0(VALU_DEP_3) | instskip(NEXT) | instid1(VALU_DEP_3)
	v_fma_f64 v[48:49], v[48:49], -0.5, v[74:75]
	v_fma_f64 v[96:97], v[44:45], s[14:15], v[96:97]
	s_delay_alu instid0(VALU_DEP_3) | instskip(SKIP_2) | instid1(VALU_DEP_2)
	v_fma_f64 v[108:109], v[44:45], s[14:15], v[54:55]
	v_add_f64_e32 v[54:55], v[72:73], v[20:21]
	v_add_f64_e32 v[44:45], v[20:21], v[66:67]
	;; [unrolled: 1-line block ×3, first 2 shown]
	v_add_f64_e64 v[46:47], v[46:47], -v[20:21]
	v_add_f64_e32 v[20:21], v[62:63], v[40:41]
	s_delay_alu instid0(VALU_DEP_4)
	v_fma_f64 v[44:45], v[44:45], -0.5, v[72:73]
	v_add_f64_e64 v[40:41], v[40:41], -v[22:23]
	v_add_f64_e32 v[62:63], v[52:53], v[26:27]
	v_add_f64_e32 v[22:23], v[54:55], v[42:43]
	v_add_f64_e64 v[42:43], v[42:43], -v[66:67]
	v_add_f64_e32 v[54:55], v[20:21], v[64:65]
	v_fma_f64 v[72:73], v[114:115], s[12:13], v[44:45]
	v_fma_f64 v[44:45], v[114:115], s[8:9], v[44:45]
	v_add_f64_e64 v[114:115], v[50:51], -v[60:61]
	v_add_f64_e32 v[20:21], v[22:23], v[66:67]
	v_add_f64_e32 v[46:47], v[46:47], v[42:43]
	;; [unrolled: 1-line block ×3, first 2 shown]
	v_add_f64_e64 v[54:55], v[64:65], -v[56:57]
	v_fma_f64 v[56:57], v[118:119], s[8:9], v[48:49]
	v_fma_f64 v[48:49], v[118:119], s[12:13], v[48:49]
	;; [unrolled: 1-line block ×4, first 2 shown]
	v_add_f64_e64 v[112:113], v[36:37], -v[24:25]
	v_add_f64_e64 v[118:119], v[52:53], -v[26:27]
	v_add_f64_e32 v[54:55], v[40:41], v[54:55]
	v_fma_f64 v[56:57], v[116:117], s[2:3], v[56:57]
	v_fma_f64 v[48:49], v[116:117], s[0:1], v[48:49]
	;; [unrolled: 1-line block ×4, first 2 shown]
	v_add_f64_e64 v[116:117], v[58:59], -v[38:39]
	v_fma_f64 v[42:43], v[54:55], s[14:15], v[56:57]
	v_fma_f64 v[46:47], v[54:55], s[14:15], v[48:49]
	v_add_f64_e64 v[48:49], v[58:59], -v[52:53]
	v_add_f64_e64 v[54:55], v[38:39], -v[26:27]
	;; [unrolled: 1-line block ×3, first 2 shown]
	s_delay_alu instid0(VALU_DEP_2) | instskip(SKIP_1) | instid1(VALU_DEP_1)
	v_add_f64_e32 v[48:49], v[48:49], v[54:55]
	v_add_f64_e64 v[54:55], v[36:37], -v[50:51]
	v_add_f64_e32 v[66:67], v[54:55], v[56:57]
	ds_load_b128 v[54:57], v196 offset:3520
	s_wait_dscnt 0x0
	v_fma_f64 v[72:73], v[62:63], -0.5, v[54:55]
	v_add_f64_e32 v[62:63], v[50:51], v[60:61]
	s_delay_alu instid0(VALU_DEP_1) | instskip(NEXT) | instid1(VALU_DEP_3)
	v_fma_f64 v[74:75], v[62:63], -0.5, v[56:57]
	v_fma_f64 v[62:63], v[112:113], s[12:13], v[72:73]
	v_fma_f64 v[72:73], v[112:113], s[8:9], v[72:73]
	s_delay_alu instid0(VALU_DEP_3) | instskip(SKIP_1) | instid1(VALU_DEP_4)
	v_fma_f64 v[64:65], v[116:117], s[8:9], v[74:75]
	v_fma_f64 v[74:75], v[116:117], s[12:13], v[74:75]
	;; [unrolled: 1-line block ×3, first 2 shown]
	s_delay_alu instid0(VALU_DEP_4) | instskip(NEXT) | instid1(VALU_DEP_4)
	v_fma_f64 v[72:73], v[114:115], s[2:3], v[72:73]
	v_fma_f64 v[64:65], v[118:119], s[2:3], v[64:65]
	s_delay_alu instid0(VALU_DEP_4) | instskip(NEXT) | instid1(VALU_DEP_4)
	v_fma_f64 v[74:75], v[118:119], s[0:1], v[74:75]
	v_fma_f64 v[62:63], v[48:49], s[14:15], v[62:63]
	s_delay_alu instid0(VALU_DEP_4) | instskip(SKIP_4) | instid1(VALU_DEP_4)
	v_fma_f64 v[72:73], v[48:49], s[14:15], v[72:73]
	v_add_f64_e32 v[48:49], v[58:59], v[38:39]
	v_fma_f64 v[64:65], v[66:67], s[14:15], v[64:65]
	v_fma_f64 v[74:75], v[66:67], s[14:15], v[74:75]
	v_add_f64_e32 v[66:67], v[36:37], v[24:25]
	v_fma_f64 v[48:49], v[48:49], -0.5, v[54:55]
	v_add_f64_e32 v[54:55], v[54:55], v[52:53]
	v_add_f64_e64 v[52:53], v[52:53], -v[58:59]
	s_delay_alu instid0(VALU_DEP_4)
	v_fma_f64 v[66:67], v[66:67], -0.5, v[56:57]
	v_add_f64_e32 v[56:57], v[56:57], v[50:51]
	v_add_f64_e64 v[50:51], v[50:51], -v[36:37]
	v_add_f64_e32 v[54:55], v[54:55], v[58:59]
	v_fma_f64 v[58:59], v[114:115], s[8:9], v[48:49]
	v_fma_f64 v[48:49], v[114:115], s[12:13], v[48:49]
	v_add_f64_e32 v[56:57], v[56:57], v[36:37]
	s_delay_alu instid0(VALU_DEP_4) | instskip(NEXT) | instid1(VALU_DEP_3)
	v_add_f64_e32 v[36:37], v[54:55], v[38:39]
	v_fma_f64 v[48:49], v[112:113], s[2:3], v[48:49]
	s_delay_alu instid0(VALU_DEP_3) | instskip(SKIP_1) | instid1(VALU_DEP_4)
	v_add_f64_e32 v[54:55], v[56:57], v[24:25]
	v_add_f64_e64 v[56:57], v[26:27], -v[38:39]
	v_add_f64_e32 v[36:37], v[36:37], v[26:27]
	v_add_f64_e64 v[24:25], v[60:61], -v[24:25]
	v_fma_f64 v[26:27], v[118:119], s[12:13], v[66:67]
	v_add_f64_e32 v[38:39], v[54:55], v[60:61]
	v_fma_f64 v[54:55], v[118:119], s[8:9], v[66:67]
	v_add_f64_e32 v[52:53], v[52:53], v[56:57]
	;; [unrolled: 2-line block ×3, first 2 shown]
	v_fma_f64 v[26:27], v[116:117], s[2:3], v[26:27]
	s_mov_b32 s2, 0x4a19b16e
	s_mov_b32 s3, 0x3f47d4ce
	v_fma_f64 v[54:55], v[116:117], s[0:1], v[54:55]
	v_fma_f64 v[48:49], v[52:53], s[14:15], v[48:49]
	;; [unrolled: 1-line block ×3, first 2 shown]
	s_delay_alu instid0(VALU_DEP_4) | instskip(NEXT) | instid1(VALU_DEP_4)
	v_fma_f64 v[26:27], v[50:51], s[14:15], v[26:27]
	v_fma_f64 v[50:51], v[50:51], s[14:15], v[54:55]
	ds_store_b128 v196, v[16:19]
	ds_store_b128 v196, v[76:79] offset:880
	ds_store_b128 v196, v[12:15] offset:8800
	;; [unrolled: 1-line block ×24, first 2 shown]
	global_wb scope:SCOPE_SE
	s_wait_dscnt 0x0
	s_barrier_signal -1
	s_barrier_wait -1
	global_inv scope:SCOPE_SE
	s_clause 0x7
	scratch_load_b128 v[6:9], off, off offset:388 th:TH_LOAD_LU
	scratch_load_b128 v[38:41], off, off offset:404 th:TH_LOAD_LU
	;; [unrolled: 1-line block ×8, first 2 shown]
	ds_load_b128 v[0:3], v196
	s_clause 0xc
	scratch_load_b128 v[26:29], off, off offset:484 th:TH_LOAD_LU
	scratch_load_b128 v[30:33], off, off offset:340 th:TH_LOAD_LU
	;; [unrolled: 1-line block ×13, first 2 shown]
	s_wait_loadcnt_dscnt 0x1400
	v_mul_f64_e32 v[4:5], v[8:9], v[2:3]
	s_delay_alu instid0(VALU_DEP_1) | instskip(SKIP_1) | instid1(VALU_DEP_1)
	v_fma_f64 v[4:5], v[6:7], v[0:1], v[4:5]
	v_mul_f64_e32 v[0:1], v[8:9], v[0:1]
	v_fma_f64 v[6:7], v[6:7], v[2:3], -v[0:1]
	ds_load_b128 v[0:3], v196 offset:2000
	s_wait_loadcnt_dscnt 0x1200
	v_mul_f64_e32 v[8:9], v[12:13], v[2:3]
	s_wait_alu 0xfffe
	v_mul_f64_e32 v[6:7], s[2:3], v[6:7]
	s_delay_alu instid0(VALU_DEP_2) | instskip(SKIP_1) | instid1(VALU_DEP_1)
	v_fma_f64 v[8:9], v[10:11], v[0:1], v[8:9]
	v_mul_f64_e32 v[0:1], v[12:13], v[0:1]
	v_fma_f64 v[10:11], v[10:11], v[2:3], -v[0:1]
	ds_load_b128 v[0:3], v196 offset:4000
	s_wait_loadcnt_dscnt 0x1000
	v_mul_f64_e32 v[12:13], v[16:17], v[2:3]
	s_delay_alu instid0(VALU_DEP_1) | instskip(SKIP_1) | instid1(VALU_DEP_1)
	v_fma_f64 v[12:13], v[14:15], v[0:1], v[12:13]
	v_mul_f64_e32 v[0:1], v[16:17], v[0:1]
	v_fma_f64 v[14:15], v[14:15], v[2:3], -v[0:1]
	ds_load_b128 v[0:3], v196 offset:6000
	s_wait_loadcnt_dscnt 0xe00
	v_mul_f64_e32 v[16:17], v[20:21], v[2:3]
	s_delay_alu instid0(VALU_DEP_1) | instskip(SKIP_1) | instid1(VALU_DEP_1)
	;; [unrolled: 7-line block ×5, first 2 shown]
	v_fma_f64 v[28:29], v[30:31], v[0:1], v[28:29]
	v_mul_f64_e32 v[0:1], v[32:33], v[0:1]
	v_fma_f64 v[30:31], v[30:31], v[2:3], -v[0:1]
	ds_load_b128 v[0:3], v196 offset:14000
	s_wait_dscnt 0x0
	v_mul_f64_e32 v[32:33], v[36:37], v[2:3]
	s_delay_alu instid0(VALU_DEP_1) | instskip(SKIP_1) | instid1(VALU_DEP_1)
	v_fma_f64 v[32:33], v[34:35], v[0:1], v[32:33]
	v_mul_f64_e32 v[0:1], v[36:37], v[0:1]
	v_fma_f64 v[34:35], v[34:35], v[2:3], -v[0:1]
	ds_load_b128 v[0:3], v196 offset:16000
	s_wait_dscnt 0x0
	v_mul_f64_e32 v[36:37], v[40:41], v[2:3]
	s_delay_alu instid0(VALU_DEP_1) | instskip(SKIP_1) | instid1(VALU_DEP_1)
	v_fma_f64 v[36:37], v[38:39], v[0:1], v[36:37]
	v_mul_f64_e32 v[0:1], v[40:41], v[0:1]
	v_fma_f64 v[38:39], v[38:39], v[2:3], -v[0:1]
	ds_load_b128 v[0:3], v196 offset:18000
	s_wait_loadcnt_dscnt 0x900
	v_mul_f64_e32 v[40:41], v[44:45], v[2:3]
	s_delay_alu instid0(VALU_DEP_1) | instskip(SKIP_1) | instid1(VALU_DEP_1)
	v_fma_f64 v[40:41], v[42:43], v[0:1], v[40:41]
	v_mul_f64_e32 v[0:1], v[44:45], v[0:1]
	v_fma_f64 v[42:43], v[42:43], v[2:3], -v[0:1]
	ds_load_b128 v[0:3], v196 offset:20000
	s_wait_loadcnt_dscnt 0x700
	;; [unrolled: 7-line block ×4, first 2 shown]
	v_mul_f64_e32 v[52:53], v[56:57], v[2:3]
	s_delay_alu instid0(VALU_DEP_1) | instskip(SKIP_1) | instid1(VALU_DEP_1)
	v_fma_f64 v[52:53], v[54:55], v[0:1], v[52:53]
	v_mul_f64_e32 v[0:1], v[56:57], v[0:1]
	v_fma_f64 v[54:55], v[54:55], v[2:3], -v[0:1]
	ds_load_b128 v[0:3], v196 offset:4880
	s_wait_dscnt 0x0
	v_mul_f64_e32 v[56:57], v[60:61], v[2:3]
	s_delay_alu instid0(VALU_DEP_1) | instskip(SKIP_1) | instid1(VALU_DEP_1)
	v_fma_f64 v[56:57], v[58:59], v[0:1], v[56:57]
	v_mul_f64_e32 v[0:1], v[60:61], v[0:1]
	v_fma_f64 v[58:59], v[58:59], v[2:3], -v[0:1]
	ds_load_b128 v[0:3], v196 offset:6880
	s_wait_dscnt 0x0
	v_mul_f64_e32 v[60:61], v[64:65], v[2:3]
	s_delay_alu instid0(VALU_DEP_1) | instskip(SKIP_1) | instid1(VALU_DEP_1)
	v_fma_f64 v[60:61], v[62:63], v[0:1], v[60:61]
	v_mul_f64_e32 v[0:1], v[64:65], v[0:1]
	v_fma_f64 v[62:63], v[62:63], v[2:3], -v[0:1]
	ds_load_b128 v[0:3], v196 offset:8880
	s_wait_loadcnt_dscnt 0x300
	v_mul_f64_e32 v[64:65], v[68:69], v[2:3]
	s_delay_alu instid0(VALU_DEP_1) | instskip(SKIP_1) | instid1(VALU_DEP_1)
	v_fma_f64 v[64:65], v[66:67], v[0:1], v[64:65]
	v_mul_f64_e32 v[0:1], v[68:69], v[0:1]
	v_fma_f64 v[66:67], v[66:67], v[2:3], -v[0:1]
	ds_load_b128 v[0:3], v196 offset:10880
	s_wait_loadcnt_dscnt 0x200
	;; [unrolled: 7-line block ×4, first 2 shown]
	v_mul_f64_e32 v[76:77], v[80:81], v[2:3]
	s_delay_alu instid0(VALU_DEP_1) | instskip(SKIP_1) | instid1(VALU_DEP_1)
	v_fma_f64 v[76:77], v[78:79], v[0:1], v[76:77]
	v_mul_f64_e32 v[0:1], v[80:81], v[0:1]
	v_fma_f64 v[78:79], v[78:79], v[2:3], -v[0:1]
	ds_load_b128 v[0:3], v196 offset:16880
	s_wait_dscnt 0x0
	v_mul_f64_e32 v[80:81], v[84:85], v[2:3]
	s_delay_alu instid0(VALU_DEP_1) | instskip(SKIP_1) | instid1(VALU_DEP_1)
	v_fma_f64 v[80:81], v[82:83], v[0:1], v[80:81]
	v_mul_f64_e32 v[0:1], v[84:85], v[0:1]
	v_fma_f64 v[82:83], v[82:83], v[2:3], -v[0:1]
	ds_load_b128 v[0:3], v196 offset:18880
	s_wait_dscnt 0x0
	v_mul_f64_e32 v[84:85], v[88:89], v[2:3]
	s_delay_alu instid0(VALU_DEP_1)
	v_fma_f64 v[84:85], v[86:87], v[0:1], v[84:85]
	v_mul_f64_e32 v[0:1], v[88:89], v[0:1]
	scratch_load_b32 v88, off, off offset:144 th:TH_LOAD_LU ; 4-byte Folded Reload
	v_fma_f64 v[0:1], v[86:87], v[2:3], -v[0:1]
	scratch_load_b64 v[2:3], off, off offset:136 th:TH_LOAD_LU ; 8-byte Folded Reload
	s_wait_loadcnt 0x0
	v_mov_b32_e32 v86, v2
	s_delay_alu instid0(VALU_DEP_1) | instskip(NEXT) | instid1(VALU_DEP_1)
	v_mad_co_u64_u32 v[2:3], null, s6, v86, 0
	v_mad_co_u64_u32 v[86:87], null, s7, v86, v[3:4]
	v_mul_f64_e32 v[4:5], s[2:3], v[4:5]
	s_delay_alu instid0(VALU_DEP_2) | instskip(SKIP_1) | instid1(VALU_DEP_2)
	v_mov_b32_e32 v3, v86
	v_mad_co_u64_u32 v[86:87], null, s4, v88, 0
	v_lshlrev_b64_e32 v[2:3], 4, v[2:3]
	s_delay_alu instid0(VALU_DEP_2) | instskip(NEXT) | instid1(VALU_DEP_2)
	v_mad_co_u64_u32 v[87:88], null, s5, v88, v[87:88]
	v_add_co_u32 v2, s0, s10, v2
	s_wait_alu 0xf1ff
	s_delay_alu instid0(VALU_DEP_3) | instskip(NEXT) | instid1(VALU_DEP_3)
	v_add_co_ci_u32_e64 v3, s0, s11, v3, s0
	v_lshlrev_b64_e32 v[86:87], 4, v[86:87]
	s_delay_alu instid0(VALU_DEP_1) | instskip(SKIP_1) | instid1(VALU_DEP_2)
	v_add_co_u32 v86, s0, v2, v86
	s_wait_alu 0xf1ff
	v_add_co_ci_u32_e64 v87, s0, v3, v87, s0
	s_mul_u64 s[0:1], s[4:5], 0x7d
	s_wait_alu 0xfffe
	s_lshl_b64 s[6:7], s[0:1], 4
	global_store_b128 v[86:87], v[4:7], off
	v_mul_f64_e32 v[4:5], s[2:3], v[8:9]
	v_mul_f64_e32 v[6:7], s[2:3], v[10:11]
	s_wait_alu 0xfffe
	v_add_co_u32 v8, s0, v86, s6
	s_wait_alu 0xf1ff
	v_add_co_ci_u32_e64 v9, s0, s7, v87, s0
	v_mul_f64_e32 v[10:11], s[2:3], v[42:43]
	v_mul_f64_e32 v[42:43], s[2:3], v[0:1]
	global_store_b128 v[8:9], v[4:7], off
	v_mul_f64_e32 v[4:5], s[2:3], v[12:13]
	v_mul_f64_e32 v[6:7], s[2:3], v[14:15]
	v_add_co_u32 v8, s0, v8, s6
	s_wait_alu 0xf1ff
	v_add_co_ci_u32_e64 v9, s0, s7, v9, s0
	v_mul_f64_e32 v[14:15], s[2:3], v[46:47]
	global_store_b128 v[8:9], v[4:7], off
	v_mul_f64_e32 v[4:5], s[2:3], v[16:17]
	v_mul_f64_e32 v[6:7], s[2:3], v[18:19]
	v_add_co_u32 v8, s0, v8, s6
	s_wait_alu 0xf1ff
	v_add_co_ci_u32_e64 v9, s0, s7, v9, s0
	global_store_b128 v[8:9], v[4:7], off
	v_mul_f64_e32 v[4:5], s[2:3], v[20:21]
	v_mul_f64_e32 v[6:7], s[2:3], v[22:23]
	scratch_load_b128 v[20:23], off, off offset:324 th:TH_LOAD_LU ; 16-byte Folded Reload
	v_add_co_u32 v8, s0, v8, s6
	s_wait_alu 0xf1ff
	v_add_co_ci_u32_e64 v9, s0, s7, v9, s0
	global_store_b128 v[8:9], v[4:7], off
	v_mul_f64_e32 v[4:5], s[2:3], v[24:25]
	v_mul_f64_e32 v[6:7], s[2:3], v[26:27]
	v_add_co_u32 v8, s0, v8, s6
	s_wait_alu 0xf1ff
	v_add_co_ci_u32_e64 v9, s0, s7, v9, s0
	v_mul_f64_e32 v[24:25], s[2:3], v[68:69]
	v_mul_f64_e32 v[26:27], s[2:3], v[70:71]
	global_store_b128 v[8:9], v[4:7], off
	v_mul_f64_e32 v[4:5], s[2:3], v[28:29]
	v_mul_f64_e32 v[6:7], s[2:3], v[30:31]
	v_add_co_u32 v8, s0, v8, s6
	s_wait_alu 0xf1ff
	v_add_co_ci_u32_e64 v9, s0, s7, v9, s0
	v_mul_f64_e32 v[28:29], s[2:3], v[72:73]
	s_delay_alu instid0(VALU_DEP_3) | instskip(SKIP_1) | instid1(VALU_DEP_3)
	v_add_co_u32 v12, s0, v8, s6
	s_wait_alu 0xf1ff
	v_add_co_ci_u32_e64 v13, s0, s7, v9, s0
	v_mul_f64_e32 v[30:31], s[2:3], v[74:75]
	s_delay_alu instid0(VALU_DEP_3) | instskip(SKIP_1) | instid1(VALU_DEP_3)
	v_add_co_u32 v16, s0, v12, s6
	s_wait_alu 0xf1ff
	v_add_co_ci_u32_e64 v17, s0, s7, v13, s0
	global_store_b128 v[8:9], v[4:7], off
	v_mul_f64_e32 v[4:5], s[2:3], v[32:33]
	v_mul_f64_e32 v[6:7], s[2:3], v[34:35]
	;; [unrolled: 1-line block ×6, first 2 shown]
	global_store_b128 v[12:13], v[4:7], off
	v_mul_f64_e32 v[4:5], s[2:3], v[36:37]
	v_mul_f64_e32 v[6:7], s[2:3], v[38:39]
	;; [unrolled: 1-line block ×5, first 2 shown]
	global_store_b128 v[16:17], v[4:7], off
	ds_load_b128 v[4:7], v196 offset:20880
	v_add_co_u32 v16, s0, v16, s6
	s_wait_alu 0xf1ff
	v_add_co_ci_u32_e64 v17, s0, s7, v17, s0
	global_store_b128 v[16:17], v[8:11], off
	v_mul_f64_e32 v[8:9], s[2:3], v[48:49]
	v_add_co_u32 v16, s0, v16, s6
	s_wait_alu 0xf1ff
	v_add_co_ci_u32_e64 v17, s0, s7, v17, s0
	s_movk_i32 s0, 0xfb55
	s_mov_b32 s1, -1
	s_wait_alu 0xfffe
	s_mul_u64 s[0:1], s[4:5], s[0:1]
	global_store_b128 v[16:17], v[12:15], off
	s_wait_alu 0xfffe
	s_lshl_b64 s[8:9], s[0:1], 4
	v_mul_f64_e32 v[12:13], s[2:3], v[56:57]
	s_wait_alu 0xfffe
	v_add_co_u32 v48, s0, v16, s8
	s_wait_alu 0xf1ff
	v_add_co_ci_u32_e64 v49, s0, s9, v17, s0
	v_mul_f64_e32 v[14:15], s[2:3], v[58:59]
	v_mul_f64_e32 v[16:17], s[2:3], v[60:61]
	s_wait_loadcnt_dscnt 0x0
	v_mul_f64_e32 v[10:11], v[22:23], v[6:7]
	v_mul_f64_e32 v[18:19], v[22:23], v[4:5]
	v_mul_f64_e32 v[22:23], s[2:3], v[66:67]
	s_delay_alu instid0(VALU_DEP_3) | instskip(NEXT) | instid1(VALU_DEP_3)
	v_fma_f64 v[44:45], v[20:21], v[4:5], v[10:11]
	v_fma_f64 v[46:47], v[20:21], v[6:7], -v[18:19]
	v_mul_f64_e32 v[10:11], s[2:3], v[50:51]
	v_mul_f64_e32 v[4:5], s[2:3], v[52:53]
	;; [unrolled: 1-line block ×3, first 2 shown]
	v_add_co_u32 v50, s0, v48, s6
	s_wait_alu 0xf1ff
	v_add_co_ci_u32_e64 v51, s0, s7, v49, s0
	v_mul_f64_e32 v[18:19], s[2:3], v[62:63]
	s_delay_alu instid0(VALU_DEP_3) | instskip(SKIP_1) | instid1(VALU_DEP_3)
	v_add_co_u32 v52, s0, v50, s6
	s_wait_alu 0xf1ff
	v_add_co_ci_u32_e64 v53, s0, s7, v51, s0
	v_mul_f64_e32 v[20:21], s[2:3], v[64:65]
	s_delay_alu instid0(VALU_DEP_3) | instskip(SKIP_1) | instid1(VALU_DEP_3)
	v_add_co_u32 v54, s0, v52, s6
	s_wait_alu 0xf1ff
	v_add_co_ci_u32_e64 v55, s0, s7, v53, s0
	s_delay_alu instid0(VALU_DEP_2) | instskip(SKIP_1) | instid1(VALU_DEP_2)
	v_add_co_u32 v0, s0, v54, s6
	s_wait_alu 0xf1ff
	v_add_co_ci_u32_e64 v1, s0, s7, v55, s0
	v_mul_f64_e32 v[44:45], s[2:3], v[44:45]
	v_mul_f64_e32 v[46:47], s[2:3], v[46:47]
	global_store_b128 v[48:49], v[8:11], off
	v_add_co_u32 v8, s0, v0, s6
	s_wait_alu 0xf1ff
	v_add_co_ci_u32_e64 v9, s0, s7, v1, s0
	global_store_b128 v[50:51], v[4:7], off
	v_add_co_u32 v4, s0, v8, s6
	s_wait_alu 0xf1ff
	v_add_co_ci_u32_e64 v5, s0, s7, v9, s0
	;; [unrolled: 4-line block ×6, first 2 shown]
	global_store_b128 v[4:5], v[28:31], off
	global_store_b128 v[6:7], v[32:35], off
	;; [unrolled: 1-line block ×5, first 2 shown]
	s_and_b32 exec_lo, exec_lo, vcc_lo
	s_cbranch_execz .LBB0_15
; %bb.14:
	scratch_load_b64 v[18:19], off, off th:TH_LOAD_LU ; 8-byte Folded Reload
	v_add_co_u32 v0, vcc_lo, v0, s8
	s_wait_alu 0xfffd
	v_add_co_ci_u32_e32 v1, vcc_lo, s9, v1, vcc_lo
	s_wait_loadcnt 0x0
	global_load_b128 v[4:7], v[18:19], off offset:1760
	ds_load_b128 v[8:11], v196 offset:1760
	ds_load_b128 v[12:15], v196 offset:3760
	s_wait_loadcnt_dscnt 0x1
	v_mul_f64_e32 v[16:17], v[10:11], v[6:7]
	v_mul_f64_e32 v[6:7], v[8:9], v[6:7]
	s_delay_alu instid0(VALU_DEP_2) | instskip(NEXT) | instid1(VALU_DEP_2)
	v_fma_f64 v[8:9], v[8:9], v[4:5], v[16:17]
	v_fma_f64 v[6:7], v[4:5], v[10:11], -v[6:7]
	s_delay_alu instid0(VALU_DEP_2) | instskip(NEXT) | instid1(VALU_DEP_2)
	v_mul_f64_e32 v[4:5], s[2:3], v[8:9]
	v_mul_f64_e32 v[6:7], s[2:3], v[6:7]
	global_store_b128 v[0:1], v[4:7], off
	global_load_b128 v[4:7], v[18:19], off offset:3760
	v_add_co_u32 v0, vcc_lo, v0, s6
	s_wait_alu 0xfffd
	v_add_co_ci_u32_e32 v1, vcc_lo, s7, v1, vcc_lo
	s_wait_loadcnt_dscnt 0x0
	v_mul_f64_e32 v[8:9], v[14:15], v[6:7]
	v_mul_f64_e32 v[6:7], v[12:13], v[6:7]
	s_delay_alu instid0(VALU_DEP_2) | instskip(NEXT) | instid1(VALU_DEP_2)
	v_fma_f64 v[8:9], v[12:13], v[4:5], v[8:9]
	v_fma_f64 v[6:7], v[4:5], v[14:15], -v[6:7]
	s_delay_alu instid0(VALU_DEP_2) | instskip(NEXT) | instid1(VALU_DEP_2)
	v_mul_f64_e32 v[4:5], s[2:3], v[8:9]
	v_mul_f64_e32 v[6:7], s[2:3], v[6:7]
	global_store_b128 v[0:1], v[4:7], off
	global_load_b128 v[4:7], v[18:19], off offset:5760
	ds_load_b128 v[8:11], v196 offset:5760
	ds_load_b128 v[12:15], v196 offset:7760
	v_add_co_u32 v0, vcc_lo, v0, s6
	s_wait_alu 0xfffd
	v_add_co_ci_u32_e32 v1, vcc_lo, s7, v1, vcc_lo
	s_wait_loadcnt_dscnt 0x1
	v_mul_f64_e32 v[16:17], v[10:11], v[6:7]
	v_mul_f64_e32 v[6:7], v[8:9], v[6:7]
	s_delay_alu instid0(VALU_DEP_2) | instskip(NEXT) | instid1(VALU_DEP_2)
	v_fma_f64 v[8:9], v[8:9], v[4:5], v[16:17]
	v_fma_f64 v[6:7], v[4:5], v[10:11], -v[6:7]
	s_delay_alu instid0(VALU_DEP_2) | instskip(NEXT) | instid1(VALU_DEP_2)
	v_mul_f64_e32 v[4:5], s[2:3], v[8:9]
	v_mul_f64_e32 v[6:7], s[2:3], v[6:7]
	global_store_b128 v[0:1], v[4:7], off
	global_load_b128 v[4:7], v[18:19], off offset:7760
	v_add_co_u32 v0, vcc_lo, v0, s6
	s_wait_alu 0xfffd
	v_add_co_ci_u32_e32 v1, vcc_lo, s7, v1, vcc_lo
	s_wait_loadcnt_dscnt 0x0
	v_mul_f64_e32 v[8:9], v[14:15], v[6:7]
	v_mul_f64_e32 v[6:7], v[12:13], v[6:7]
	s_delay_alu instid0(VALU_DEP_2) | instskip(NEXT) | instid1(VALU_DEP_2)
	v_fma_f64 v[8:9], v[12:13], v[4:5], v[8:9]
	v_fma_f64 v[6:7], v[4:5], v[14:15], -v[6:7]
	s_delay_alu instid0(VALU_DEP_2) | instskip(NEXT) | instid1(VALU_DEP_2)
	v_mul_f64_e32 v[4:5], s[2:3], v[8:9]
	v_mul_f64_e32 v[6:7], s[2:3], v[6:7]
	global_store_b128 v[0:1], v[4:7], off
	global_load_b128 v[4:7], v[18:19], off offset:9760
	ds_load_b128 v[8:11], v196 offset:9760
	ds_load_b128 v[12:15], v196 offset:11760
	v_add_co_u32 v0, vcc_lo, v0, s6
	s_wait_alu 0xfffd
	v_add_co_ci_u32_e32 v1, vcc_lo, s7, v1, vcc_lo
	;; [unrolled: 30-line block ×4, first 2 shown]
	s_wait_loadcnt_dscnt 0x1
	v_mul_f64_e32 v[16:17], v[10:11], v[6:7]
	v_mul_f64_e32 v[6:7], v[8:9], v[6:7]
	s_delay_alu instid0(VALU_DEP_2) | instskip(NEXT) | instid1(VALU_DEP_2)
	v_fma_f64 v[8:9], v[8:9], v[4:5], v[16:17]
	v_fma_f64 v[6:7], v[4:5], v[10:11], -v[6:7]
	s_delay_alu instid0(VALU_DEP_2) | instskip(NEXT) | instid1(VALU_DEP_2)
	v_mul_f64_e32 v[4:5], s[2:3], v[8:9]
	v_mul_f64_e32 v[6:7], s[2:3], v[6:7]
	global_store_b128 v[0:1], v[4:7], off
	global_load_b128 v[4:7], v[18:19], off offset:19760
	v_add_co_u32 v0, vcc_lo, v0, s6
	s_wait_alu 0xfffd
	v_add_co_ci_u32_e32 v1, vcc_lo, s7, v1, vcc_lo
	s_wait_loadcnt_dscnt 0x0
	v_mul_f64_e32 v[8:9], v[14:15], v[6:7]
	v_mul_f64_e32 v[6:7], v[12:13], v[6:7]
	s_delay_alu instid0(VALU_DEP_2) | instskip(NEXT) | instid1(VALU_DEP_2)
	v_fma_f64 v[8:9], v[12:13], v[4:5], v[8:9]
	v_fma_f64 v[6:7], v[4:5], v[14:15], -v[6:7]
	s_delay_alu instid0(VALU_DEP_2) | instskip(NEXT) | instid1(VALU_DEP_2)
	v_mul_f64_e32 v[4:5], s[2:3], v[8:9]
	v_mul_f64_e32 v[6:7], s[2:3], v[6:7]
	ds_load_b128 v[8:11], v196 offset:21760
	global_store_b128 v[0:1], v[4:7], off
	global_load_b128 v[4:7], v[18:19], off offset:21760
	s_wait_loadcnt_dscnt 0x0
	v_mul_f64_e32 v[0:1], v[10:11], v[6:7]
	v_mul_f64_e32 v[6:7], v[8:9], v[6:7]
	s_delay_alu instid0(VALU_DEP_2) | instskip(NEXT) | instid1(VALU_DEP_2)
	v_fma_f64 v[0:1], v[8:9], v[4:5], v[0:1]
	v_fma_f64 v[6:7], v[4:5], v[10:11], -v[6:7]
	scratch_load_b32 v10, off, off offset:976 th:TH_LOAD_LU ; 4-byte Folded Reload
	v_mul_f64_e32 v[4:5], s[2:3], v[0:1]
	v_mul_f64_e32 v[6:7], s[2:3], v[6:7]
	s_wait_loadcnt 0x0
	v_mad_co_u64_u32 v[8:9], null, s4, v10, 0
	s_delay_alu instid0(VALU_DEP_1) | instskip(NEXT) | instid1(VALU_DEP_1)
	v_mov_b32_e32 v0, v9
	v_mad_co_u64_u32 v[0:1], null, s5, v10, v[0:1]
	s_delay_alu instid0(VALU_DEP_1) | instskip(NEXT) | instid1(VALU_DEP_1)
	v_mov_b32_e32 v9, v0
	v_lshlrev_b64_e32 v[0:1], 4, v[8:9]
	s_delay_alu instid0(VALU_DEP_1) | instskip(SKIP_1) | instid1(VALU_DEP_2)
	v_add_co_u32 v0, vcc_lo, v2, v0
	s_wait_alu 0xfffd
	v_add_co_ci_u32_e32 v1, vcc_lo, v3, v1, vcc_lo
	global_store_b128 v[0:1], v[4:7], off
.LBB0_15:
	s_nop 0
	s_sendmsg sendmsg(MSG_DEALLOC_VGPRS)
	s_endpgm
	.section	.rodata,"a",@progbits
	.p2align	6, 0x0
	.amdhsa_kernel bluestein_single_fwd_len1375_dim1_dp_op_CI_CI
		.amdhsa_group_segment_fixed_size 22000
		.amdhsa_private_segment_fixed_size 988
		.amdhsa_kernarg_size 104
		.amdhsa_user_sgpr_count 2
		.amdhsa_user_sgpr_dispatch_ptr 0
		.amdhsa_user_sgpr_queue_ptr 0
		.amdhsa_user_sgpr_kernarg_segment_ptr 1
		.amdhsa_user_sgpr_dispatch_id 0
		.amdhsa_user_sgpr_private_segment_size 0
		.amdhsa_wavefront_size32 1
		.amdhsa_uses_dynamic_stack 0
		.amdhsa_enable_private_segment 1
		.amdhsa_system_sgpr_workgroup_id_x 1
		.amdhsa_system_sgpr_workgroup_id_y 0
		.amdhsa_system_sgpr_workgroup_id_z 0
		.amdhsa_system_sgpr_workgroup_info 0
		.amdhsa_system_vgpr_workitem_id 0
		.amdhsa_next_free_vgpr 256
		.amdhsa_next_free_sgpr 40
		.amdhsa_reserve_vcc 1
		.amdhsa_float_round_mode_32 0
		.amdhsa_float_round_mode_16_64 0
		.amdhsa_float_denorm_mode_32 3
		.amdhsa_float_denorm_mode_16_64 3
		.amdhsa_fp16_overflow 0
		.amdhsa_workgroup_processor_mode 1
		.amdhsa_memory_ordered 1
		.amdhsa_forward_progress 0
		.amdhsa_round_robin_scheduling 0
		.amdhsa_exception_fp_ieee_invalid_op 0
		.amdhsa_exception_fp_denorm_src 0
		.amdhsa_exception_fp_ieee_div_zero 0
		.amdhsa_exception_fp_ieee_overflow 0
		.amdhsa_exception_fp_ieee_underflow 0
		.amdhsa_exception_fp_ieee_inexact 0
		.amdhsa_exception_int_div_zero 0
	.end_amdhsa_kernel
	.text
.Lfunc_end0:
	.size	bluestein_single_fwd_len1375_dim1_dp_op_CI_CI, .Lfunc_end0-bluestein_single_fwd_len1375_dim1_dp_op_CI_CI
                                        ; -- End function
	.section	.AMDGPU.csdata,"",@progbits
; Kernel info:
; codeLenInByte = 43928
; NumSgprs: 42
; NumVgprs: 256
; ScratchSize: 988
; MemoryBound: 0
; FloatMode: 240
; IeeeMode: 1
; LDSByteSize: 22000 bytes/workgroup (compile time only)
; SGPRBlocks: 5
; VGPRBlocks: 31
; NumSGPRsForWavesPerEU: 42
; NumVGPRsForWavesPerEU: 256
; Occupancy: 3
; WaveLimiterHint : 1
; COMPUTE_PGM_RSRC2:SCRATCH_EN: 1
; COMPUTE_PGM_RSRC2:USER_SGPR: 2
; COMPUTE_PGM_RSRC2:TRAP_HANDLER: 0
; COMPUTE_PGM_RSRC2:TGID_X_EN: 1
; COMPUTE_PGM_RSRC2:TGID_Y_EN: 0
; COMPUTE_PGM_RSRC2:TGID_Z_EN: 0
; COMPUTE_PGM_RSRC2:TIDIG_COMP_CNT: 0
	.text
	.p2alignl 7, 3214868480
	.fill 96, 4, 3214868480
	.type	__hip_cuid_d2678901b7b1f663,@object ; @__hip_cuid_d2678901b7b1f663
	.section	.bss,"aw",@nobits
	.globl	__hip_cuid_d2678901b7b1f663
__hip_cuid_d2678901b7b1f663:
	.byte	0                               ; 0x0
	.size	__hip_cuid_d2678901b7b1f663, 1

	.ident	"AMD clang version 19.0.0git (https://github.com/RadeonOpenCompute/llvm-project roc-6.4.0 25133 c7fe45cf4b819c5991fe208aaa96edf142730f1d)"
	.section	".note.GNU-stack","",@progbits
	.addrsig
	.addrsig_sym __hip_cuid_d2678901b7b1f663
	.amdgpu_metadata
---
amdhsa.kernels:
  - .args:
      - .actual_access:  read_only
        .address_space:  global
        .offset:         0
        .size:           8
        .value_kind:     global_buffer
      - .actual_access:  read_only
        .address_space:  global
        .offset:         8
        .size:           8
        .value_kind:     global_buffer
      - .actual_access:  read_only
        .address_space:  global
        .offset:         16
        .size:           8
        .value_kind:     global_buffer
      - .actual_access:  read_only
        .address_space:  global
        .offset:         24
        .size:           8
        .value_kind:     global_buffer
      - .actual_access:  read_only
        .address_space:  global
        .offset:         32
        .size:           8
        .value_kind:     global_buffer
      - .offset:         40
        .size:           8
        .value_kind:     by_value
      - .address_space:  global
        .offset:         48
        .size:           8
        .value_kind:     global_buffer
      - .address_space:  global
        .offset:         56
        .size:           8
        .value_kind:     global_buffer
      - .address_space:  global
        .offset:         64
        .size:           8
        .value_kind:     global_buffer
      - .address_space:  global
        .offset:         72
        .size:           8
        .value_kind:     global_buffer
      - .offset:         80
        .size:           4
        .value_kind:     by_value
      - .address_space:  global
        .offset:         88
        .size:           8
        .value_kind:     global_buffer
      - .address_space:  global
        .offset:         96
        .size:           8
        .value_kind:     global_buffer
    .group_segment_fixed_size: 22000
    .kernarg_segment_align: 8
    .kernarg_segment_size: 104
    .language:       OpenCL C
    .language_version:
      - 2
      - 0
    .max_flat_workgroup_size: 55
    .name:           bluestein_single_fwd_len1375_dim1_dp_op_CI_CI
    .private_segment_fixed_size: 988
    .sgpr_count:     42
    .sgpr_spill_count: 0
    .symbol:         bluestein_single_fwd_len1375_dim1_dp_op_CI_CI.kd
    .uniform_work_group_size: 1
    .uses_dynamic_stack: false
    .vgpr_count:     256
    .vgpr_spill_count: 278
    .wavefront_size: 32
    .workgroup_processor_mode: 1
amdhsa.target:   amdgcn-amd-amdhsa--gfx1201
amdhsa.version:
  - 1
  - 2
...

	.end_amdgpu_metadata
